;; amdgpu-corpus repo=ROCm/rocFFT kind=compiled arch=gfx906 opt=O3
	.text
	.amdgcn_target "amdgcn-amd-amdhsa--gfx906"
	.amdhsa_code_object_version 6
	.protected	fft_rtc_fwd_len1440_factors_10_16_3_3_wgs_90_tpt_90_halfLds_half_op_CI_CI_unitstride_sbrr_R2C_dirReg ; -- Begin function fft_rtc_fwd_len1440_factors_10_16_3_3_wgs_90_tpt_90_halfLds_half_op_CI_CI_unitstride_sbrr_R2C_dirReg
	.globl	fft_rtc_fwd_len1440_factors_10_16_3_3_wgs_90_tpt_90_halfLds_half_op_CI_CI_unitstride_sbrr_R2C_dirReg
	.p2align	8
	.type	fft_rtc_fwd_len1440_factors_10_16_3_3_wgs_90_tpt_90_halfLds_half_op_CI_CI_unitstride_sbrr_R2C_dirReg,@function
fft_rtc_fwd_len1440_factors_10_16_3_3_wgs_90_tpt_90_halfLds_half_op_CI_CI_unitstride_sbrr_R2C_dirReg: ; @fft_rtc_fwd_len1440_factors_10_16_3_3_wgs_90_tpt_90_halfLds_half_op_CI_CI_unitstride_sbrr_R2C_dirReg
; %bb.0:
	s_load_dwordx4 s[8:11], s[4:5], 0x58
	s_load_dwordx4 s[12:15], s[4:5], 0x0
	;; [unrolled: 1-line block ×3, first 2 shown]
	v_mul_u32_u24_e32 v1, 0x2d9, v0
	v_mov_b32_e32 v3, 0
	v_mov_b32_e32 v8, 0
	s_waitcnt lgkmcnt(0)
	v_cmp_lt_u64_e64 s[0:1], s[14:15], 2
	v_add_u32_sdwa v10, s6, v1 dst_sel:DWORD dst_unused:UNUSED_PAD src0_sel:DWORD src1_sel:WORD_1
	v_mov_b32_e32 v11, v3
	s_and_b64 vcc, exec, s[0:1]
	v_mov_b32_e32 v9, 0
	s_cbranch_vccnz .LBB0_8
; %bb.1:
	s_load_dwordx2 s[0:1], s[4:5], 0x10
	s_add_u32 s2, s18, 8
	s_addc_u32 s3, s19, 0
	s_add_u32 s6, s16, 8
	s_addc_u32 s7, s17, 0
	v_mov_b32_e32 v8, 0
	s_waitcnt lgkmcnt(0)
	s_add_u32 s20, s0, 8
	v_mov_b32_e32 v9, 0
	v_mov_b32_e32 v1, v8
	s_addc_u32 s21, s1, 0
	s_mov_b64 s[22:23], 1
	v_mov_b32_e32 v2, v9
.LBB0_2:                                ; =>This Inner Loop Header: Depth=1
	s_load_dwordx2 s[24:25], s[20:21], 0x0
                                        ; implicit-def: $vgpr5_vgpr6
	s_waitcnt lgkmcnt(0)
	v_or_b32_e32 v4, s25, v11
	v_cmp_ne_u64_e32 vcc, 0, v[3:4]
	s_and_saveexec_b64 s[0:1], vcc
	s_xor_b64 s[26:27], exec, s[0:1]
	s_cbranch_execz .LBB0_4
; %bb.3:                                ;   in Loop: Header=BB0_2 Depth=1
	v_cvt_f32_u32_e32 v4, s24
	v_cvt_f32_u32_e32 v5, s25
	s_sub_u32 s0, 0, s24
	s_subb_u32 s1, 0, s25
	v_mac_f32_e32 v4, 0x4f800000, v5
	v_rcp_f32_e32 v4, v4
	v_mul_f32_e32 v4, 0x5f7ffffc, v4
	v_mul_f32_e32 v5, 0x2f800000, v4
	v_trunc_f32_e32 v5, v5
	v_mac_f32_e32 v4, 0xcf800000, v5
	v_cvt_u32_f32_e32 v5, v5
	v_cvt_u32_f32_e32 v4, v4
	v_mul_lo_u32 v6, s0, v5
	v_mul_hi_u32 v7, s0, v4
	v_mul_lo_u32 v13, s1, v4
	v_mul_lo_u32 v12, s0, v4
	v_add_u32_e32 v6, v7, v6
	v_add_u32_e32 v6, v6, v13
	v_mul_hi_u32 v7, v4, v12
	v_mul_lo_u32 v13, v4, v6
	v_mul_hi_u32 v15, v4, v6
	v_mul_hi_u32 v14, v5, v12
	v_mul_lo_u32 v12, v5, v12
	v_mul_hi_u32 v16, v5, v6
	v_add_co_u32_e32 v7, vcc, v7, v13
	v_addc_co_u32_e32 v13, vcc, 0, v15, vcc
	v_mul_lo_u32 v6, v5, v6
	v_add_co_u32_e32 v7, vcc, v7, v12
	v_addc_co_u32_e32 v7, vcc, v13, v14, vcc
	v_addc_co_u32_e32 v12, vcc, 0, v16, vcc
	v_add_co_u32_e32 v6, vcc, v7, v6
	v_addc_co_u32_e32 v7, vcc, 0, v12, vcc
	v_add_co_u32_e32 v4, vcc, v4, v6
	v_addc_co_u32_e32 v5, vcc, v5, v7, vcc
	v_mul_lo_u32 v6, s0, v5
	v_mul_hi_u32 v7, s0, v4
	v_mul_lo_u32 v12, s1, v4
	v_mul_lo_u32 v13, s0, v4
	v_add_u32_e32 v6, v7, v6
	v_add_u32_e32 v6, v6, v12
	v_mul_lo_u32 v14, v4, v6
	v_mul_hi_u32 v15, v4, v13
	v_mul_hi_u32 v16, v4, v6
	v_mul_hi_u32 v12, v5, v13
	v_mul_lo_u32 v13, v5, v13
	v_mul_hi_u32 v7, v5, v6
	v_add_co_u32_e32 v14, vcc, v15, v14
	v_addc_co_u32_e32 v15, vcc, 0, v16, vcc
	v_mul_lo_u32 v6, v5, v6
	v_add_co_u32_e32 v13, vcc, v14, v13
	v_addc_co_u32_e32 v12, vcc, v15, v12, vcc
	v_addc_co_u32_e32 v7, vcc, 0, v7, vcc
	v_add_co_u32_e32 v6, vcc, v12, v6
	v_addc_co_u32_e32 v7, vcc, 0, v7, vcc
	v_add_co_u32_e32 v6, vcc, v4, v6
	v_addc_co_u32_e32 v7, vcc, v5, v7, vcc
	v_mad_u64_u32 v[4:5], s[0:1], v10, v7, 0
	v_mul_hi_u32 v12, v10, v6
	v_add_co_u32_e32 v12, vcc, v12, v4
	v_addc_co_u32_e32 v13, vcc, 0, v5, vcc
	v_mad_u64_u32 v[4:5], s[0:1], v11, v6, 0
	v_mad_u64_u32 v[6:7], s[0:1], v11, v7, 0
	v_add_co_u32_e32 v4, vcc, v12, v4
	v_addc_co_u32_e32 v4, vcc, v13, v5, vcc
	v_addc_co_u32_e32 v5, vcc, 0, v7, vcc
	v_add_co_u32_e32 v7, vcc, v4, v6
	v_addc_co_u32_e32 v6, vcc, 0, v5, vcc
	v_mul_lo_u32 v12, s25, v7
	v_mul_lo_u32 v13, s24, v6
	v_mad_u64_u32 v[4:5], s[0:1], s24, v7, 0
	v_add3_u32 v5, v5, v13, v12
	v_sub_u32_e32 v12, v11, v5
	v_mov_b32_e32 v13, s25
	v_sub_co_u32_e32 v4, vcc, v10, v4
	v_subb_co_u32_e64 v12, s[0:1], v12, v13, vcc
	v_subrev_co_u32_e64 v13, s[0:1], s24, v4
	v_subbrev_co_u32_e64 v12, s[0:1], 0, v12, s[0:1]
	v_cmp_le_u32_e64 s[0:1], s25, v12
	v_cndmask_b32_e64 v14, 0, -1, s[0:1]
	v_cmp_le_u32_e64 s[0:1], s24, v13
	v_cndmask_b32_e64 v13, 0, -1, s[0:1]
	v_cmp_eq_u32_e64 s[0:1], s25, v12
	v_cndmask_b32_e64 v12, v14, v13, s[0:1]
	v_add_co_u32_e64 v13, s[0:1], 2, v7
	v_addc_co_u32_e64 v14, s[0:1], 0, v6, s[0:1]
	v_add_co_u32_e64 v15, s[0:1], 1, v7
	v_addc_co_u32_e64 v16, s[0:1], 0, v6, s[0:1]
	v_subb_co_u32_e32 v5, vcc, v11, v5, vcc
	v_cmp_ne_u32_e64 s[0:1], 0, v12
	v_cmp_le_u32_e32 vcc, s25, v5
	v_cndmask_b32_e64 v12, v16, v14, s[0:1]
	v_cndmask_b32_e64 v14, 0, -1, vcc
	v_cmp_le_u32_e32 vcc, s24, v4
	v_cndmask_b32_e64 v4, 0, -1, vcc
	v_cmp_eq_u32_e32 vcc, s25, v5
	v_cndmask_b32_e32 v4, v14, v4, vcc
	v_cmp_ne_u32_e32 vcc, 0, v4
	v_cndmask_b32_e64 v4, v15, v13, s[0:1]
	v_cndmask_b32_e32 v6, v6, v12, vcc
	v_cndmask_b32_e32 v5, v7, v4, vcc
.LBB0_4:                                ;   in Loop: Header=BB0_2 Depth=1
	s_andn2_saveexec_b64 s[0:1], s[26:27]
	s_cbranch_execz .LBB0_6
; %bb.5:                                ;   in Loop: Header=BB0_2 Depth=1
	v_cvt_f32_u32_e32 v4, s24
	s_sub_i32 s26, 0, s24
	v_rcp_iflag_f32_e32 v4, v4
	v_mul_f32_e32 v4, 0x4f7ffffe, v4
	v_cvt_u32_f32_e32 v4, v4
	v_mul_lo_u32 v5, s26, v4
	v_mul_hi_u32 v5, v4, v5
	v_add_u32_e32 v4, v4, v5
	v_mul_hi_u32 v4, v10, v4
	v_mul_lo_u32 v5, v4, s24
	v_add_u32_e32 v6, 1, v4
	v_sub_u32_e32 v5, v10, v5
	v_subrev_u32_e32 v7, s24, v5
	v_cmp_le_u32_e32 vcc, s24, v5
	v_cndmask_b32_e32 v5, v5, v7, vcc
	v_cndmask_b32_e32 v4, v4, v6, vcc
	v_add_u32_e32 v6, 1, v4
	v_cmp_le_u32_e32 vcc, s24, v5
	v_cndmask_b32_e32 v5, v4, v6, vcc
	v_mov_b32_e32 v6, v3
.LBB0_6:                                ;   in Loop: Header=BB0_2 Depth=1
	s_or_b64 exec, exec, s[0:1]
	v_mul_lo_u32 v4, v6, s24
	v_mul_lo_u32 v7, v5, s25
	v_mad_u64_u32 v[12:13], s[0:1], v5, s24, 0
	s_load_dwordx2 s[0:1], s[6:7], 0x0
	s_load_dwordx2 s[24:25], s[2:3], 0x0
	v_add3_u32 v4, v13, v7, v4
	v_sub_co_u32_e32 v7, vcc, v10, v12
	v_subb_co_u32_e32 v4, vcc, v11, v4, vcc
	s_waitcnt lgkmcnt(0)
	v_mul_lo_u32 v10, s0, v4
	v_mul_lo_u32 v11, s1, v7
	v_mad_u64_u32 v[8:9], s[0:1], s0, v7, v[8:9]
	s_add_u32 s22, s22, 1
	s_addc_u32 s23, s23, 0
	s_add_u32 s2, s2, 8
	v_mul_lo_u32 v4, s24, v4
	v_mul_lo_u32 v12, s25, v7
	v_mad_u64_u32 v[1:2], s[0:1], s24, v7, v[1:2]
	v_add3_u32 v9, v11, v9, v10
	s_addc_u32 s3, s3, 0
	v_mov_b32_e32 v10, s14
	s_add_u32 s6, s6, 8
	v_mov_b32_e32 v11, s15
	s_addc_u32 s7, s7, 0
	v_cmp_ge_u64_e32 vcc, s[22:23], v[10:11]
	s_add_u32 s20, s20, 8
	v_add3_u32 v2, v12, v2, v4
	s_addc_u32 s21, s21, 0
	s_cbranch_vccnz .LBB0_9
; %bb.7:                                ;   in Loop: Header=BB0_2 Depth=1
	v_mov_b32_e32 v11, v6
	v_mov_b32_e32 v10, v5
	s_branch .LBB0_2
.LBB0_8:
	v_mov_b32_e32 v1, v8
	v_mov_b32_e32 v5, v10
	;; [unrolled: 1-line block ×4, first 2 shown]
.LBB0_9:
	s_load_dwordx2 s[4:5], s[4:5], 0x28
	s_lshl_b64 s[6:7], s[14:15], 3
	s_add_u32 s2, s18, s6
	s_addc_u32 s3, s19, s7
                                        ; implicit-def: $vgpr3
                                        ; implicit-def: $vgpr7
	s_waitcnt lgkmcnt(0)
	v_cmp_gt_u64_e64 s[0:1], s[4:5], v[5:6]
	v_cmp_le_u64_e32 vcc, s[4:5], v[5:6]
	s_and_saveexec_b64 s[4:5], vcc
	s_xor_b64 s[4:5], exec, s[4:5]
; %bb.10:
	s_mov_b32 s14, 0x2d82d83
	v_mul_hi_u32 v3, v0, s14
                                        ; implicit-def: $vgpr8_vgpr9
	v_mul_u32_u24_e32 v3, 0x5a, v3
	v_sub_u32_e32 v3, v0, v3
	v_add_u32_e32 v7, 0x5a, v3
                                        ; implicit-def: $vgpr0
; %bb.11:
	s_andn2_saveexec_b64 s[4:5], s[4:5]
	s_cbranch_execz .LBB0_13
; %bb.12:
	s_add_u32 s6, s16, s6
	s_addc_u32 s7, s17, s7
	s_load_dwordx2 s[6:7], s[6:7], 0x0
	s_mov_b32 s14, 0x2d82d83
	v_mul_hi_u32 v3, v0, s14
	s_waitcnt lgkmcnt(0)
	v_mul_lo_u32 v4, s7, v5
	v_mul_lo_u32 v7, s6, v6
	v_mad_u64_u32 v[10:11], s[6:7], s6, v5, 0
	v_mul_u32_u24_e32 v3, 0x5a, v3
	v_sub_u32_e32 v3, v0, v3
	v_add3_u32 v11, v11, v7, v4
	v_lshlrev_b64 v[10:11], 2, v[10:11]
	v_mov_b32_e32 v0, s9
	v_add_co_u32_e32 v4, vcc, s8, v10
	v_lshlrev_b64 v[7:8], 2, v[8:9]
	v_addc_co_u32_e32 v0, vcc, v0, v11, vcc
	v_add_co_u32_e32 v4, vcc, v4, v7
	v_addc_co_u32_e32 v0, vcc, v0, v8, vcc
	v_lshlrev_b32_e32 v11, 2, v3
	v_add_co_u32_e32 v7, vcc, v4, v11
	v_addc_co_u32_e32 v8, vcc, 0, v0, vcc
	v_add_co_u32_e32 v9, vcc, 0x1000, v7
	global_load_dword v0, v[7:8], off
	global_load_dword v4, v[7:8], off offset:360
	global_load_dword v12, v[7:8], off offset:720
	;; [unrolled: 1-line block ×7, first 2 shown]
	v_addc_co_u32_e32 v10, vcc, 0, v8, vcc
	global_load_dword v18, v[7:8], off offset:2880
	global_load_dword v19, v[7:8], off offset:3240
	;; [unrolled: 1-line block ×8, first 2 shown]
	v_add_u32_e32 v7, 0x5a, v3
	v_add_u32_e32 v8, 0, v11
	;; [unrolled: 1-line block ×9, first 2 shown]
	s_waitcnt vmcnt(14)
	ds_write2_b32 v8, v0, v4 offset1:90
	s_waitcnt vmcnt(12)
	ds_write2_b32 v9, v12, v13 offset0:52 offset1:142
	s_waitcnt vmcnt(10)
	ds_write2_b32 v10, v14, v15 offset0:104 offset1:194
	;; [unrolled: 2-line block ×7, first 2 shown]
.LBB0_13:
	s_or_b64 exec, exec, s[4:5]
	v_lshl_add_u32 v0, v3, 2, 0
	v_add_u32_e32 v4, 0x400, v0
	s_load_dwordx2 s[4:5], s[2:3], 0x0
	s_waitcnt lgkmcnt(0)
	s_barrier
	ds_read2_b32 v[18:19], v4 offset0:32 offset1:122
	v_add_u32_e32 v4, 0x800, v0
	v_add_u32_e32 v29, 0xc00, v0
	;; [unrolled: 1-line block ×3, first 2 shown]
	ds_read2_b32 v[8:9], v4 offset0:64 offset1:154
	ds_read2_b32 v[12:13], v29 offset0:96 offset1:186
	;; [unrolled: 1-line block ×3, first 2 shown]
	v_add_u32_e32 v28, 0x600, v0
	v_add_u32_e32 v34, 0xa00, v0
	;; [unrolled: 1-line block ×4, first 2 shown]
	ds_read2_b32 v[22:23], v28 offset0:48 offset1:138
	ds_read2_b32 v[10:11], v34 offset0:80 offset1:170
	;; [unrolled: 1-line block ×4, first 2 shown]
	s_waitcnt lgkmcnt(4)
	v_sub_f16_e32 v24, v16, v12
	v_sub_f16_e32 v25, v18, v8
	v_add_f16_e32 v31, v25, v24
	v_sub_f16_sdwa v24, v18, v8 dst_sel:DWORD dst_unused:UNUSED_PAD src0_sel:WORD_1 src1_sel:WORD_1
	v_sub_f16_sdwa v25, v16, v12 dst_sel:DWORD dst_unused:UNUSED_PAD src0_sel:WORD_1 src1_sel:WORD_1
	v_add_f16_e32 v32, v24, v25
	s_waitcnt lgkmcnt(0)
	v_sub_f16_e32 v24, v20, v14
	v_sub_f16_e32 v25, v22, v10
	v_add_f16_e32 v35, v25, v24
	v_sub_f16_sdwa v24, v22, v10 dst_sel:DWORD dst_unused:UNUSED_PAD src0_sel:WORD_1 src1_sel:WORD_1
	v_sub_f16_sdwa v25, v20, v14 dst_sel:DWORD dst_unused:UNUSED_PAD src0_sel:WORD_1 src1_sel:WORD_1
	v_add_f16_e32 v36, v24, v25
	ds_read2_b32 v[24:25], v0 offset0:144 offset1:234
	v_add_f16_e32 v26, v10, v14
	s_movk_i32 s6, 0x3b9c
	v_sub_f16_sdwa v38, v22, v20 dst_sel:DWORD dst_unused:UNUSED_PAD src0_sel:WORD_1 src1_sel:WORD_1
	s_movk_i32 s7, 0x38b4
	s_waitcnt lgkmcnt(0)
	v_fma_f16 v37, v26, -0.5, v24
	v_fma_f16 v26, v38, s6, v37
	v_sub_f16_sdwa v39, v10, v14 dst_sel:DWORD dst_unused:UNUSED_PAD src0_sel:WORD_1 src1_sel:WORD_1
	s_movk_i32 s2, 0x34f2
	v_fma_f16 v26, v39, s7, v26
	v_fma_f16 v33, v35, s2, v26
	v_add_f16_sdwa v26, v10, v14 dst_sel:DWORD dst_unused:UNUSED_PAD src0_sel:WORD_1 src1_sel:WORD_1
	v_lshrrev_b32_e32 v40, 16, v24
	s_mov_b32 s8, 0xbb9c
	v_fma_f16 v41, v26, -0.5, v40
	v_sub_f16_e32 v42, v22, v20
	s_mov_b32 s9, 0xb8b4
	v_fma_f16 v26, v42, s8, v41
	v_sub_f16_e32 v43, v10, v14
	v_fma_f16 v26, v43, s9, v26
	v_fma_f16 v44, v36, s2, v26
	ds_read2_b32 v[26:27], v0 offset1:90
	s_movk_i32 s3, 0x3a79
	v_mul_f16_e32 v45, 0x3a79, v33
	v_mul_f16_e32 v33, 0xb8b4, v33
	v_fma_f16 v45, v44, s7, v45
	v_fma_f16 v44, v44, s3, v33
	v_add_f16_e32 v33, v8, v12
	s_waitcnt lgkmcnt(0)
	v_fma_f16 v46, v33, -0.5, v26
	v_sub_f16_sdwa v47, v18, v16 dst_sel:DWORD dst_unused:UNUSED_PAD src0_sel:WORD_1 src1_sel:WORD_1
	v_fma_f16 v33, v47, s6, v46
	v_sub_f16_sdwa v48, v8, v12 dst_sel:DWORD dst_unused:UNUSED_PAD src0_sel:WORD_1 src1_sel:WORD_1
	v_fma_f16 v33, v48, s7, v33
	v_fma_f16 v49, v31, s2, v33
	v_add_f16_sdwa v33, v8, v12 dst_sel:DWORD dst_unused:UNUSED_PAD src0_sel:WORD_1 src1_sel:WORD_1
	v_lshrrev_b32_e32 v50, 16, v26
	v_fma_f16 v51, v33, -0.5, v50
	v_sub_f16_e32 v52, v18, v16
	v_fma_f16 v33, v52, s8, v51
	v_sub_f16_e32 v53, v8, v12
	v_fma_f16 v33, v53, s9, v33
	v_fma_f16 v54, v32, s2, v33
	v_add_f16_e32 v33, v49, v45
	v_add_f16_e32 v55, v54, v44
	v_pack_b32_f16 v55, v33, v55
	v_pk_add_f16 v33, v26, v18
	v_pk_add_f16 v33, v33, v8
	;; [unrolled: 1-line block ×8, first 2 shown]
	v_mad_u32_u24 v33, v3, 36, v0
	v_pk_add_f16 v58, v56, v57
	s_barrier
	ds_write2_b32 v33, v58, v55 offset1:1
	v_sub_f16_e32 v55, v12, v16
	v_sub_f16_e32 v58, v8, v18
	v_add_f16_e32 v55, v58, v55
	v_add_f16_e32 v58, v18, v16
	v_fma_f16 v26, v58, -0.5, v26
	v_fma_f16 v58, v48, s8, v26
	v_fma_f16 v26, v48, s6, v26
	;; [unrolled: 1-line block ×6, first 2 shown]
	v_add_f16_sdwa v55, v18, v16 dst_sel:DWORD dst_unused:UNUSED_PAD src0_sel:WORD_1 src1_sel:WORD_1
	v_fma_f16 v50, v55, -0.5, v50
	v_sub_f16_sdwa v8, v8, v18 dst_sel:DWORD dst_unused:UNUSED_PAD src0_sel:WORD_1 src1_sel:WORD_1
	v_sub_f16_sdwa v12, v12, v16 dst_sel:DWORD dst_unused:UNUSED_PAD src0_sel:WORD_1 src1_sel:WORD_1
	v_add_f16_e32 v8, v8, v12
	v_fma_f16 v12, v53, s6, v50
	v_fma_f16 v16, v53, s8, v50
	;; [unrolled: 1-line block ×6, first 2 shown]
	v_sub_f16_e32 v16, v14, v20
	v_sub_f16_e32 v18, v10, v22
	v_add_f16_e32 v16, v18, v16
	v_add_f16_e32 v18, v22, v20
	v_fma_f16 v18, v18, -0.5, v24
	v_fma_f16 v24, v39, s8, v18
	v_fma_f16 v18, v39, s6, v18
	;; [unrolled: 1-line block ×6, first 2 shown]
	v_add_f16_sdwa v18, v22, v20 dst_sel:DWORD dst_unused:UNUSED_PAD src0_sel:WORD_1 src1_sel:WORD_1
	v_fma_f16 v18, v18, -0.5, v40
	v_sub_f16_sdwa v10, v10, v22 dst_sel:DWORD dst_unused:UNUSED_PAD src0_sel:WORD_1 src1_sel:WORD_1
	v_sub_f16_sdwa v14, v14, v20 dst_sel:DWORD dst_unused:UNUSED_PAD src0_sel:WORD_1 src1_sel:WORD_1
	v_add_f16_e32 v10, v10, v14
	v_fma_f16 v14, v43, s6, v18
	v_fma_f16 v14, v42, s9, v14
	;; [unrolled: 1-line block ×5, first 2 shown]
	v_mul_f16_e32 v20, 0xbb9c, v24
	v_fma_f16 v10, v10, s2, v18
	v_mul_f16_e32 v18, 0x3b9c, v14
	v_fma_f16 v14, v14, s2, v20
	v_mul_f16_e32 v20, 0x34f2, v16
	v_fma_f16 v20, v10, s6, -v20
	v_mul_f16_e32 v10, 0x34f2, v10
	v_fma_f16 v10, v16, s8, -v10
	v_fma_f16 v18, v24, s2, v18
	v_add_f16_e32 v16, v26, v20
	v_add_f16_e32 v22, v8, v10
	v_pack_b32_f16 v16, v16, v22
	v_add_f16_e32 v22, v58, v18
	v_add_f16_e32 v24, v12, v14
	v_pack_b32_f16 v22, v22, v24
	ds_write2_b32 v33, v22, v16 offset0:2 offset1:3
	v_fma_f16 v16, v47, s8, v46
	v_fma_f16 v16, v48, s9, v16
	v_fma_f16 v24, v38, s8, v37
	v_fma_f16 v16, v31, s2, v16
	v_fma_f16 v22, v52, s6, v51
	v_fma_f16 v24, v39, s9, v24
	v_fma_f16 v31, v42, s6, v41
	v_fma_f16 v22, v53, s7, v22
	v_fma_f16 v24, v35, s2, v24
	v_fma_f16 v31, v43, s7, v31
	v_fma_f16 v22, v32, s2, v22
	v_fma_f16 v31, v36, s2, v31
	v_mul_f16_e32 v32, 0x3a79, v24
	v_fma_f16 v32, v31, s7, -v32
	v_mul_f16_e32 v31, 0x3a79, v31
	v_fma_f16 v24, v24, s9, -v31
	v_add_f16_e32 v35, v16, v32
	v_add_f16_e32 v36, v22, v24
	v_pk_add_f16 v31, v56, v57 neg_lo:[0,1] neg_hi:[0,1]
	v_pack_b32_f16 v35, v35, v36
	ds_write2_b32 v33, v35, v31 offset0:4 offset1:5
	v_sub_f16_e32 v31, v49, v45
	v_sub_f16_e32 v18, v58, v18
	;; [unrolled: 1-line block ×4, first 2 shown]
	v_pack_b32_f16 v14, v31, v35
	v_pack_b32_f16 v12, v18, v12
	ds_write2_b32 v33, v14, v12 offset0:6 offset1:7
	v_sub_f16_e32 v12, v26, v20
	v_sub_f16_e32 v14, v16, v32
	;; [unrolled: 1-line block ×4, first 2 shown]
	v_pack_b32_f16 v10, v14, v10
	v_pack_b32_f16 v8, v12, v8
	ds_write2_b32 v33, v8, v10 offset0:8 offset1:9
	v_sub_f16_e32 v8, v17, v13
	v_sub_f16_e32 v10, v19, v9
	v_add_f16_e32 v18, v10, v8
	v_sub_f16_e32 v8, v13, v17
	v_sub_f16_e32 v10, v9, v19
	v_add_f16_e32 v20, v10, v8
	v_sub_f16_sdwa v8, v19, v9 dst_sel:DWORD dst_unused:UNUSED_PAD src0_sel:WORD_1 src1_sel:WORD_1
	v_sub_f16_sdwa v10, v17, v13 dst_sel:DWORD dst_unused:UNUSED_PAD src0_sel:WORD_1 src1_sel:WORD_1
	v_add_f16_e32 v36, v8, v10
	v_add_f16_sdwa v8, v9, v13 dst_sel:DWORD dst_unused:UNUSED_PAD src0_sel:WORD_1 src1_sel:WORD_1
	v_lshrrev_b32_e32 v10, 16, v27
	v_fma_f16 v44, v8, -0.5, v10
	v_add_f16_sdwa v8, v19, v17 dst_sel:DWORD dst_unused:UNUSED_PAD src0_sel:WORD_1 src1_sel:WORD_1
	v_fma_f16 v8, v8, -0.5, v10
	v_sub_f16_sdwa v10, v9, v19 dst_sel:DWORD dst_unused:UNUSED_PAD src0_sel:WORD_1 src1_sel:WORD_1
	v_sub_f16_sdwa v12, v13, v17 dst_sel:DWORD dst_unused:UNUSED_PAD src0_sel:WORD_1 src1_sel:WORD_1
	v_add_f16_e32 v41, v10, v12
	v_sub_f16_e32 v10, v21, v15
	v_sub_f16_e32 v12, v23, v11
	v_add_f16_e32 v39, v12, v10
	v_sub_f16_e32 v10, v15, v21
	v_sub_f16_e32 v12, v11, v23
	v_add_f16_e32 v40, v12, v10
	v_sub_f16_sdwa v10, v23, v11 dst_sel:DWORD dst_unused:UNUSED_PAD src0_sel:WORD_1 src1_sel:WORD_1
	v_sub_f16_sdwa v12, v21, v15 dst_sel:DWORD dst_unused:UNUSED_PAD src0_sel:WORD_1 src1_sel:WORD_1
	v_add_f16_e32 v38, v10, v12
	v_add_f16_sdwa v10, v11, v15 dst_sel:DWORD dst_unused:UNUSED_PAD src0_sel:WORD_1 src1_sel:WORD_1
	v_lshrrev_b32_e32 v12, 16, v25
	v_fma_f16 v35, v10, -0.5, v12
	v_add_f16_sdwa v10, v23, v21 dst_sel:DWORD dst_unused:UNUSED_PAD src0_sel:WORD_1 src1_sel:WORD_1
	v_fma_f16 v14, v10, -0.5, v12
	v_sub_f16_sdwa v10, v11, v23 dst_sel:DWORD dst_unused:UNUSED_PAD src0_sel:WORD_1 src1_sel:WORD_1
	v_sub_f16_sdwa v12, v15, v21 dst_sel:DWORD dst_unused:UNUSED_PAD src0_sel:WORD_1 src1_sel:WORD_1
	v_add_f16_e32 v42, v10, v12
	v_add_f16_e32 v10, v11, v15
	v_fma_f16 v53, v10, -0.5, v25
	v_sub_f16_sdwa v50, v23, v21 dst_sel:DWORD dst_unused:UNUSED_PAD src0_sel:WORD_1 src1_sel:WORD_1
	v_fma_f16 v10, v50, s6, v53
	v_sub_f16_sdwa v54, v11, v15 dst_sel:DWORD dst_unused:UNUSED_PAD src0_sel:WORD_1 src1_sel:WORD_1
	v_fma_f16 v10, v54, s7, v10
	v_sub_f16_e32 v48, v23, v21
	v_fma_f16 v12, v39, s2, v10
	v_fma_f16 v10, v48, s8, v35
	v_sub_f16_e32 v51, v11, v15
	v_fma_f16 v10, v51, s9, v10
	v_fma_f16 v16, v38, s2, v10
	v_mul_f16_e32 v10, 0x3a79, v12
	v_mul_f16_e32 v12, 0xb8b4, v12
	v_fma_f16 v10, v16, s7, v10
	v_fma_f16 v12, v16, s3, v12
	v_add_f16_e32 v16, v23, v21
	v_fma_f16 v45, v16, -0.5, v25
	v_fma_f16 v16, v54, s8, v45
	v_fma_f16 v16, v50, s7, v16
	;; [unrolled: 1-line block ×6, first 2 shown]
	v_mul_f16_e32 v16, 0x3b9c, v24
	v_fma_f16 v16, v22, s2, v16
	v_mul_f16_e32 v22, 0xbb9c, v22
	v_fma_f16 v22, v24, s2, v22
	v_add_f16_e32 v24, v9, v13
	v_fma_f16 v46, v24, -0.5, v27
	v_sub_f16_sdwa v55, v19, v17 dst_sel:DWORD dst_unused:UNUSED_PAD src0_sel:WORD_1 src1_sel:WORD_1
	v_fma_f16 v24, v55, s6, v46
	v_sub_f16_sdwa v56, v9, v13 dst_sel:DWORD dst_unused:UNUSED_PAD src0_sel:WORD_1 src1_sel:WORD_1
	v_fma_f16 v24, v56, s7, v24
	v_fma_f16 v37, v18, s2, v24
	v_add_f16_e32 v24, v19, v17
	v_fma_f16 v49, v24, -0.5, v27
	v_fma_f16 v24, v56, s8, v49
	v_fma_f16 v24, v55, s7, v24
	v_sub_f16_e32 v57, v19, v17
	v_fma_f16 v43, v20, s2, v24
	v_fma_f16 v24, v57, s8, v44
	v_sub_f16_e32 v58, v9, v13
	v_fma_f16 v24, v58, s9, v24
	v_fma_f16 v47, v36, s2, v24
	;; [unrolled: 1-line block ×5, first 2 shown]
	v_cmp_gt_u32_e32 vcc, 54, v3
	v_sub_f16_e32 v24, v37, v10
	v_sub_f16_e32 v26, v43, v16
	;; [unrolled: 1-line block ×4, first 2 shown]
	s_and_saveexec_b64 s[2:3], vcc
	s_cbranch_execz .LBB0_15
; %bb.14:
	v_mul_f16_e32 v60, 0x3b9c, v57
	v_add_f16_e32 v44, v44, v60
	v_mul_f16_e32 v60, 0x38b4, v58
	v_add_f16_e32 v44, v60, v44
	;; [unrolled: 2-line block ×3, first 2 shown]
	v_mul_f16_e32 v44, 0x3b9c, v50
	v_sub_f16_e32 v44, v53, v44
	v_mul_f16_e32 v53, 0x38b4, v54
	v_mul_f16_e32 v59, 0x3b9c, v55
	;; [unrolled: 1-line block ×4, first 2 shown]
	v_sub_f16_e32 v44, v44, v53
	v_mul_f16_e32 v53, 0x3b9c, v48
	v_mul_f16_e32 v60, 0x38b4, v56
	v_mul_f16_e32 v57, 0x38b4, v57
	v_add_f16_e32 v39, v39, v44
	v_mul_f16_e32 v44, 0x38b4, v51
	v_add_f16_e32 v35, v35, v53
	v_sub_f16_e32 v8, v8, v58
	v_pk_add_f16 v23, v25, v23
	v_sub_f16_e32 v25, v46, v59
	v_mul_f16_e32 v18, 0x34f2, v18
	v_mul_f16_e32 v41, 0x34f2, v41
	;; [unrolled: 1-line block ×4, first 2 shown]
	v_add_f16_e32 v35, v44, v35
	v_add_f16_e32 v8, v57, v8
	v_sub_f16_e32 v25, v25, v60
	v_mul_f16_e32 v56, 0x3b9c, v56
	v_mul_f16_e32 v50, 0x38b4, v50
	;; [unrolled: 1-line block ×3, first 2 shown]
	v_add_f16_e32 v35, v38, v35
	v_add_f16_e32 v8, v41, v8
	v_add_f16_e32 v41, v54, v45
	v_add_f16_e32 v18, v18, v25
	v_mul_f16_e32 v25, 0x3a79, v39
	v_mul_f16_e32 v55, 0x38b4, v55
	;; [unrolled: 1-line block ×5, first 2 shown]
	v_sub_f16_e32 v41, v41, v50
	v_sub_f16_e32 v14, v14, v51
	v_fma_f16 v25, v35, s7, -v25
	v_add_f16_e32 v35, v56, v49
	v_mul_f16_e32 v20, 0x34f2, v20
	v_mul_f16_e32 v42, 0x34f2, v42
	v_add_f16_e32 v40, v40, v41
	v_add_f16_e32 v14, v48, v14
	v_pk_add_f16 v19, v27, v19
	v_sub_f16_e32 v35, v35, v55
	v_add_f16_e32 v14, v42, v14
	v_add_f16_e32 v20, v20, v35
	v_mul_f16_e32 v35, 0x34f2, v40
	v_pk_add_f16 v9, v19, v9
	v_pk_add_f16 v11, v23, v11
	v_mul_f16_e32 v41, 0x34f2, v14
	v_fma_f16 v14, v14, s6, -v35
	v_pk_add_f16 v9, v9, v13
	v_pk_add_f16 v11, v11, v15
	v_fma_f16 v41, v40, s8, -v41
	v_sub_f16_e32 v35, v20, v14
	v_add_f16_e32 v12, v47, v12
	v_add_f16_e32 v14, v20, v14
	;; [unrolled: 1-line block ×3, first 2 shown]
	v_mul_i32_i24_e32 v20, 10, v7
	v_pk_add_f16 v9, v9, v17
	v_pk_add_f16 v11, v11, v21
	v_fma_f16 v38, v39, s9, -v38
	v_sub_f16_e32 v42, v8, v41
	v_add_f16_e32 v8, v8, v41
	v_add_f16_e32 v22, v52, v22
	;; [unrolled: 1-line block ×3, first 2 shown]
	v_lshl_add_u32 v20, v20, 2, 0
	v_pk_add_f16 v13, v9, v11
	v_pack_b32_f16 v10, v10, v12
	v_sub_f16_e32 v44, v36, v38
	v_sub_f16_e32 v27, v18, v25
	v_add_f16_e32 v36, v36, v38
	v_add_f16_e32 v18, v18, v25
	ds_write2_b32 v20, v13, v10 offset1:1
	v_pack_b32_f16 v8, v14, v8
	v_pack_b32_f16 v10, v16, v22
	ds_write2_b32 v20, v10, v8 offset0:2 offset1:3
	v_pk_add_f16 v8, v9, v11 neg_lo:[0,1] neg_hi:[0,1]
	v_pack_b32_f16 v9, v18, v36
	s_mov_b32 s6, 0x5040100
	ds_write2_b32 v20, v9, v8 offset0:4 offset1:5
	v_perm_b32 v8, v31, v26, s6
	v_perm_b32 v9, v32, v24, s6
	ds_write2_b32 v20, v9, v8 offset0:6 offset1:7
	v_pack_b32_f16 v8, v27, v44
	v_pack_b32_f16 v9, v35, v42
	ds_write2_b32 v20, v9, v8 offset0:8 offset1:9
.LBB0_15:
	s_or_b64 exec, exec, s[2:3]
	s_movk_i32 s2, 0xffdc
	v_mad_i32_i24 v9, v3, s2, v33
	s_movk_i32 s2, 0xcd
	v_mul_lo_u16_sdwa v15, v3, s2 dst_sel:DWORD dst_unused:UNUSED_PAD src0_sel:BYTE_0 src1_sel:DWORD
	v_lshrrev_b16_e32 v52, 11, v15
	v_mul_lo_u16_e32 v15, 10, v52
	v_sub_u16_e32 v53, v3, v15
	v_mov_b32_e32 v15, 15
	v_mul_u32_u24_sdwa v15, v53, v15 dst_sel:DWORD dst_unused:UNUSED_PAD src0_sel:BYTE_0 src1_sel:DWORD
	v_lshlrev_b32_e32 v54, 2, v15
	s_waitcnt lgkmcnt(0)
	s_barrier
	global_load_dwordx4 v[15:18], v54, s[12:13]
	v_lshl_add_u32 v22, v7, 2, 0
	ds_read_b32 v21, v0
	ds_read_b32 v13, v22
	v_add_u32_e32 v10, 0x200, v9
	ds_read2_b32 v[11:12], v10 offset0:52 offset1:142
	v_add_u32_e32 v14, 0x400, v9
	ds_read2_b32 v[19:20], v14 offset0:104 offset1:194
	s_waitcnt lgkmcnt(2)
	v_lshrrev_b32_e32 v55, 16, v13
	ds_read2_b32 v[35:36], v4 offset0:28 offset1:118
	ds_read2_b32 v[37:38], v34 offset0:80 offset1:170
	;; [unrolled: 1-line block ×3, first 2 shown]
	s_waitcnt lgkmcnt(3)
	v_lshrrev_b32_e32 v23, 16, v20
	ds_read2_b32 v[41:42], v30 offset0:56 offset1:146
	s_waitcnt lgkmcnt(3)
	v_lshrrev_b32_e32 v25, 16, v35
	v_lshrrev_b32_e32 v27, 16, v36
	s_waitcnt lgkmcnt(2)
	v_lshrrev_b32_e32 v34, 16, v37
	v_lshrrev_b32_e32 v45, 16, v38
	;; [unrolled: 3-line block ×3, first 2 shown]
	s_waitcnt lgkmcnt(0)
	v_lshrrev_b32_e32 v48, 16, v41
	v_add_u32_e32 v14, 0x1200, v0
	ds_read2_b32 v[43:44], v14 offset0:108 offset1:198
	v_lshrrev_b32_e32 v49, 16, v42
	s_mov_b32 s2, 0xb9a8
	s_movk_i32 s3, 0x39a8
	s_mov_b32 s6, 0xbb64
	s_waitcnt lgkmcnt(0)
	v_lshrrev_b32_e32 v50, 16, v43
	v_lshrrev_b32_e32 v51, 16, v44
	s_movk_i32 s8, 0x361f
	s_mov_b32 s7, 0xb61f
	s_movk_i32 s9, 0x3b64
	v_mul_i32_i24_e32 v8, 0xffffffdc, v3
	v_cmp_gt_u32_e32 vcc, 30, v3
	s_waitcnt vmcnt(0)
	v_mul_f16_sdwa v56, v15, v55 dst_sel:DWORD dst_unused:UNUSED_PAD src0_sel:WORD_1 src1_sel:DWORD
	v_fma_f16 v56, v15, v13, -v56
	v_mul_f16_sdwa v13, v15, v13 dst_sel:DWORD dst_unused:UNUSED_PAD src0_sel:WORD_1 src1_sel:DWORD
	v_fma_f16 v55, v15, v55, v13
	v_lshrrev_b32_e32 v13, 16, v11
	v_mul_f16_sdwa v15, v16, v13 dst_sel:DWORD dst_unused:UNUSED_PAD src0_sel:WORD_1 src1_sel:DWORD
	v_fma_f16 v57, v16, v11, -v15
	v_mul_f16_sdwa v11, v16, v11 dst_sel:DWORD dst_unused:UNUSED_PAD src0_sel:WORD_1 src1_sel:DWORD
	v_fma_f16 v58, v16, v13, v11
	v_lshrrev_b32_e32 v11, 16, v12
	v_mul_f16_sdwa v13, v17, v11 dst_sel:DWORD dst_unused:UNUSED_PAD src0_sel:WORD_1 src1_sel:DWORD
	v_fma_f16 v59, v17, v12, -v13
	v_mul_f16_sdwa v12, v17, v12 dst_sel:DWORD dst_unused:UNUSED_PAD src0_sel:WORD_1 src1_sel:DWORD
	v_fma_f16 v60, v17, v11, v12
	v_lshrrev_b32_e32 v11, 16, v19
	v_mul_f16_sdwa v12, v18, v11 dst_sel:DWORD dst_unused:UNUSED_PAD src0_sel:WORD_1 src1_sel:DWORD
	v_fma_f16 v61, v18, v19, -v12
	v_mul_f16_sdwa v12, v18, v19 dst_sel:DWORD dst_unused:UNUSED_PAD src0_sel:WORD_1 src1_sel:DWORD
	v_fma_f16 v19, v18, v11, v12
	global_load_dwordx4 v[15:18], v54, s[12:13] offset:16
	s_waitcnt vmcnt(0)
	v_mul_f16_sdwa v11, v23, v15 dst_sel:DWORD dst_unused:UNUSED_PAD src0_sel:DWORD src1_sel:WORD_1
	v_fma_f16 v62, v20, v15, -v11
	v_mul_f16_sdwa v11, v20, v15 dst_sel:DWORD dst_unused:UNUSED_PAD src0_sel:DWORD src1_sel:WORD_1
	v_fma_f16 v20, v23, v15, v11
	v_mul_f16_sdwa v11, v25, v16 dst_sel:DWORD dst_unused:UNUSED_PAD src0_sel:DWORD src1_sel:WORD_1
	v_fma_f16 v23, v35, v16, -v11
	v_mul_f16_sdwa v11, v35, v16 dst_sel:DWORD dst_unused:UNUSED_PAD src0_sel:DWORD src1_sel:WORD_1
	v_fma_f16 v25, v25, v16, v11
	;; [unrolled: 4-line block ×4, first 2 shown]
	global_load_dwordx4 v[15:18], v54, s[12:13] offset:32
	v_sub_f16_e32 v36, v21, v36
	s_waitcnt vmcnt(0)
	v_mul_f16_sdwa v11, v45, v15 dst_sel:DWORD dst_unused:UNUSED_PAD src0_sel:DWORD src1_sel:WORD_1
	v_fma_f16 v37, v38, v15, -v11
	v_mul_f16_sdwa v11, v38, v15 dst_sel:DWORD dst_unused:UNUSED_PAD src0_sel:DWORD src1_sel:WORD_1
	v_fma_f16 v15, v45, v15, v11
	v_mul_f16_sdwa v11, v46, v16 dst_sel:DWORD dst_unused:UNUSED_PAD src0_sel:DWORD src1_sel:WORD_1
	v_fma_f16 v38, v39, v16, -v11
	v_mul_f16_sdwa v11, v39, v16 dst_sel:DWORD dst_unused:UNUSED_PAD src0_sel:DWORD src1_sel:WORD_1
	v_fma_f16 v16, v46, v16, v11
	;; [unrolled: 4-line block ×4, first 2 shown]
	global_load_dwordx3 v[11:13], v54, s[12:13] offset:48
	v_sub_f16_e32 v40, v61, v40
	v_sub_f16_e32 v16, v58, v16
	;; [unrolled: 1-line block ×3, first 2 shown]
	v_fma_f16 v45, v61, 2.0, -v40
	v_sub_f16_e32 v38, v57, v38
	v_fma_f16 v19, v19, 2.0, -v18
	v_fma_f16 v47, v58, 2.0, -v16
	v_sub_f16_e32 v37, v56, v37
	v_sub_f16_e32 v15, v55, v15
	;; [unrolled: 1-line block ×4, first 2 shown]
	v_fma_f16 v46, v57, 2.0, -v38
	v_fma_f16 v48, v56, 2.0, -v37
	v_sub_f16_e32 v39, v59, v39
	v_fma_f16 v54, v60, 2.0, -v17
	s_waitcnt vmcnt(0)
	s_barrier
	v_mul_f16_sdwa v41, v49, v11 dst_sel:DWORD dst_unused:UNUSED_PAD src0_sel:DWORD src1_sel:WORD_1
	v_fma_f16 v41, v42, v11, -v41
	v_mul_f16_sdwa v42, v42, v11 dst_sel:DWORD dst_unused:UNUSED_PAD src0_sel:DWORD src1_sel:WORD_1
	v_fma_f16 v11, v49, v11, v42
	v_mul_f16_sdwa v42, v50, v12 dst_sel:DWORD dst_unused:UNUSED_PAD src0_sel:DWORD src1_sel:WORD_1
	v_fma_f16 v42, v43, v12, -v42
	v_mul_f16_sdwa v43, v43, v12 dst_sel:DWORD dst_unused:UNUSED_PAD src0_sel:DWORD src1_sel:WORD_1
	v_fma_f16 v12, v50, v12, v43
	;; [unrolled: 4-line block ×3, first 2 shown]
	v_lshrrev_b32_e32 v44, 16, v21
	v_sub_f16_e32 v34, v44, v34
	v_sub_f16_e32 v42, v23, v42
	;; [unrolled: 1-line block ×3, first 2 shown]
	v_fma_f16 v23, v23, 2.0, -v42
	v_add_f16_e32 v40, v34, v40
	v_add_f16_e32 v42, v16, v42
	v_fma_f16 v44, v44, 2.0, -v34
	v_fma_f16 v25, v25, 2.0, -v12
	v_sub_f16_e32 v41, v62, v41
	v_sub_f16_e32 v43, v35, v43
	v_fma_f16 v34, v34, 2.0, -v40
	v_sub_f16_e32 v12, v38, v12
	v_fma_f16 v16, v16, 2.0, -v42
	v_fma_f16 v21, v21, 2.0, -v36
	v_sub_f16_e32 v11, v20, v11
	v_fma_f16 v50, v62, 2.0, -v41
	v_sub_f16_e32 v13, v27, v13
	v_fma_f16 v35, v35, 2.0, -v43
	v_fma_f16 v36, v36, 2.0, -v18
	;; [unrolled: 1-line block ×3, first 2 shown]
	v_add_f16_e32 v41, v15, v41
	v_add_f16_e32 v43, v17, v43
	v_fma_f16 v56, v16, s2, v34
	v_fma_f16 v49, v55, 2.0, -v15
	v_fma_f16 v20, v20, 2.0, -v11
	;; [unrolled: 1-line block ×3, first 2 shown]
	v_sub_f16_e32 v11, v37, v11
	v_fma_f16 v15, v15, 2.0, -v41
	v_sub_f16_e32 v13, v39, v13
	v_fma_f16 v17, v17, 2.0, -v43
	v_fma_f16 v55, v38, s2, v36
	v_fma_f16 v38, v38, s3, v56
	;; [unrolled: 1-line block ×3, first 2 shown]
	v_fma_f16 v51, v59, 2.0, -v39
	v_fma_f16 v37, v37, 2.0, -v11
	v_fma_f16 v39, v39, 2.0, -v13
	v_fma_f16 v16, v16, s2, v55
	v_fma_f16 v55, v12, s3, v18
	;; [unrolled: 1-line block ×7, first 2 shown]
	v_sub_f16_e32 v45, v21, v45
	v_sub_f16_e32 v25, v47, v25
	;; [unrolled: 1-line block ×4, first 2 shown]
	v_fma_f16 v34, v34, 2.0, -v38
	v_fma_f16 v17, v17, s2, v55
	v_fma_f16 v15, v15, 2.0, -v39
	v_fma_f16 v56, v43, s3, v41
	v_sub_f16_e32 v19, v44, v19
	v_sub_f16_e32 v23, v46, v23
	v_fma_f16 v47, v47, 2.0, -v25
	v_sub_f16_e32 v20, v49, v20
	v_sub_f16_e32 v35, v51, v35
	v_fma_f16 v54, v54, 2.0, -v27
	v_fma_f16 v36, v36, 2.0, -v16
	v_sub_f16_e32 v25, v45, v25
	v_fma_f16 v37, v37, 2.0, -v17
	v_sub_f16_e32 v27, v50, v27
	v_fma_f16 v55, v13, s3, v11
	v_fma_f16 v13, v13, s3, v56
	;; [unrolled: 1-line block ×3, first 2 shown]
	v_fma_f16 v21, v21, 2.0, -v45
	v_fma_f16 v46, v46, 2.0, -v23
	;; [unrolled: 1-line block ×4, first 2 shown]
	v_add_f16_e32 v23, v19, v23
	v_fma_f16 v45, v45, 2.0, -v25
	v_add_f16_e32 v35, v20, v35
	v_fma_f16 v50, v50, 2.0, -v27
	v_fma_f16 v43, v43, s2, v55
	v_fma_f16 v55, v37, s6, v36
	;; [unrolled: 1-line block ×3, first 2 shown]
	v_fma_f16 v44, v44, 2.0, -v19
	v_fma_f16 v49, v49, 2.0, -v20
	;; [unrolled: 1-line block ×6, first 2 shown]
	v_fma_f16 v15, v15, s7, v55
	v_fma_f16 v55, v34, 2.0, -v37
	v_fma_f16 v34, v50, s2, v45
	v_fma_f16 v40, v40, 2.0, -v12
	v_fma_f16 v41, v41, 2.0, -v13
	v_fma_f16 v56, v20, s2, v19
	v_fma_f16 v20, v20, s2, v34
	;; [unrolled: 1-line block ×14, first 2 shown]
	v_sub_f16_e32 v46, v21, v46
	v_sub_f16_e32 v47, v44, v47
	;; [unrolled: 1-line block ×4, first 2 shown]
	v_fma_f16 v17, v17, s9, v56
	v_fma_f16 v56, v35, s3, v23
	;; [unrolled: 1-line block ×3, first 2 shown]
	v_fma_f16 v13, v42, 2.0, -v34
	v_mul_u32_u24_e32 v42, 0xa0, v52
	v_fma_f16 v48, v48, 2.0, -v51
	v_fma_f16 v49, v49, 2.0, -v54
	;; [unrolled: 1-line block ×6, first 2 shown]
	v_sub_f16_e32 v54, v46, v54
	v_add_f16_e32 v51, v47, v51
	v_or_b32_sdwa v42, v42, v53 dst_sel:DWORD dst_unused:UNUSED_PAD src0_sel:DWORD src1_sel:BYTE_0
	v_fma_f16 v21, v21, 2.0, -v46
	v_fma_f16 v44, v44, 2.0, -v47
	;; [unrolled: 1-line block ×6, first 2 shown]
	v_fma_f16 v27, v27, s3, v56
	v_fma_f16 v35, v43, s8, v35
	v_lshl_add_u32 v42, v42, 2, 0
	v_pack_b32_f16 v19, v45, v19
	v_pack_b32_f16 v18, v18, v40
	v_fma_f16 v25, v25, 2.0, -v57
	v_fma_f16 v23, v23, 2.0, -v27
	;; [unrolled: 1-line block ×3, first 2 shown]
	ds_write2_b32 v42, v19, v18 offset0:20 offset1:30
	v_pack_b32_f16 v18, v46, v47
	v_pack_b32_f16 v16, v16, v38
	v_sub_f16_e32 v48, v21, v48
	v_sub_f16_e32 v49, v44, v49
	ds_write2_b32 v42, v18, v16 offset0:40 offset1:50
	v_pack_b32_f16 v16, v25, v23
	v_pack_b32_f16 v12, v13, v12
	ds_write2_b32 v42, v16, v12 offset0:60 offset1:70
	v_pack_b32_f16 v12, v48, v49
	v_pack_b32_f16 v13, v15, v37
	ds_write2_b32 v42, v12, v13 offset0:80 offset1:90
	v_pack_b32_f16 v12, v20, v50
	v_pack_b32_f16 v11, v41, v11
	v_fma_f16 v21, v21, 2.0, -v48
	v_fma_f16 v44, v44, 2.0, -v49
	v_fma_f16 v36, v36, 2.0, -v15
	ds_write2_b32 v42, v12, v11 offset0:100 offset1:110
	v_pack_b32_f16 v11, v54, v51
	v_pack_b32_f16 v12, v39, v17
	;; [unrolled: 1-line block ×4, first 2 shown]
	ds_write2_b32 v42, v11, v12 offset0:120 offset1:130
	v_pack_b32_f16 v11, v57, v27
	v_pack_b32_f16 v12, v34, v35
	ds_write2_b32 v42, v21, v36 offset1:10
	ds_write2_b32 v42, v11, v12 offset0:140 offset1:150
	s_waitcnt lgkmcnt(0)
	s_barrier
	ds_read_b32 v36, v0
	ds_read2_b32 v[20:21], v28 offset0:96 offset1:186
	ds_read2_b32 v[12:13], v29 offset0:72 offset1:192
	ds_read_b32 v29, v22
	ds_read2_b32 v[18:19], v30 offset0:26 offset1:116
	ds_read2_b32 v[10:11], v10 offset0:52 offset1:142
	;; [unrolled: 1-line block ×4, first 2 shown]
	ds_read_b32 v28, v9 offset:1440
	v_add_u32_e32 v23, v33, v8
	s_and_saveexec_b64 s[2:3], vcc
	s_cbranch_execz .LBB0_17
; %bb.16:
	ds_read_b32 v34, v23 offset:1800
	ds_read_b32 v24, v0 offset:3720
	;; [unrolled: 1-line block ×3, first 2 shown]
	s_waitcnt lgkmcnt(2)
	v_lshrrev_b32_e32 v35, 16, v34
	s_waitcnt lgkmcnt(1)
	v_lshrrev_b32_e32 v32, 16, v24
	;; [unrolled: 2-line block ×3, first 2 shown]
.LBB0_17:
	s_or_b64 exec, exec, s[2:3]
	v_lshlrev_b32_e32 v37, 1, v3
	v_mov_b32_e32 v38, 0
	v_lshlrev_b64 v[8:9], 2, v[37:38]
	v_mov_b32_e32 v54, s13
	v_add_co_u32_e64 v8, s[2:3], s12, v8
	v_addc_co_u32_e64 v9, s[2:3], v54, v9, s[2:3]
	global_load_dwordx2 v[39:40], v[8:9], off offset:600
	s_waitcnt lgkmcnt(7)
	v_lshrrev_b32_e32 v47, 16, v20
	s_waitcnt lgkmcnt(6)
	v_lshrrev_b32_e32 v48, 16, v13
	s_movk_i32 s2, 0x46
	v_cmp_gt_u32_e64 s[2:3], s2, v3
	v_lshrrev_b32_e32 v49, 16, v21
	v_add_u32_e32 v37, 40, v37
	s_waitcnt lgkmcnt(4)
	v_lshrrev_b32_e32 v50, 16, v18
	s_waitcnt lgkmcnt(2)
	v_lshrrev_b32_e32 v51, 16, v16
	v_lshrrev_b32_e32 v52, 16, v19
	v_add_u32_e32 v27, 0x10e, v3
	v_lshrrev_b32_e32 v53, 16, v17
	s_waitcnt lgkmcnt(1)
	v_lshrrev_b32_e32 v43, 16, v14
	v_add_u32_e32 v25, 0x168, v3
	v_lshrrev_b32_e32 v45, 16, v12
	v_lshrrev_b32_e32 v46, 16, v15
	v_add_u32_e32 v4, 0x1c2, v3
	v_lshrrev_b32_e32 v30, 16, v36
	v_lshrrev_b32_e32 v33, 16, v29
	;; [unrolled: 1-line block ×4, first 2 shown]
	s_waitcnt lgkmcnt(0)
	v_lshrrev_b32_e32 v44, 16, v28
	s_waitcnt vmcnt(0)
	v_mul_f16_sdwa v55, v39, v47 dst_sel:DWORD dst_unused:UNUSED_PAD src0_sel:WORD_1 src1_sel:DWORD
	v_fma_f16 v55, v39, v20, -v55
	v_mul_f16_sdwa v20, v39, v20 dst_sel:DWORD dst_unused:UNUSED_PAD src0_sel:WORD_1 src1_sel:DWORD
	v_fma_f16 v47, v39, v47, v20
	v_mul_f16_sdwa v20, v40, v48 dst_sel:DWORD dst_unused:UNUSED_PAD src0_sel:WORD_1 src1_sel:DWORD
	v_fma_f16 v56, v40, v13, -v20
	v_mul_f16_sdwa v13, v40, v13 dst_sel:DWORD dst_unused:UNUSED_PAD src0_sel:WORD_1 src1_sel:DWORD
	v_fma_f16 v48, v40, v48, v13
	v_add_u32_e32 v13, 0xffffffba, v3
	v_cndmask_b32_e64 v57, v13, v7, s[2:3]
	v_lshlrev_b32_e32 v39, 1, v57
	v_mov_b32_e32 v40, v38
	v_lshlrev_b64 v[39:40], 2, v[39:40]
	v_add_co_u32_e64 v39, s[2:3], s12, v39
	v_addc_co_u32_e64 v40, s[2:3], v54, v40, s[2:3]
	global_load_dwordx2 v[39:40], v[39:40], off offset:600
	s_waitcnt vmcnt(0)
	v_mul_f16_sdwa v13, v39, v49 dst_sel:DWORD dst_unused:UNUSED_PAD src0_sel:WORD_1 src1_sel:DWORD
	v_fma_f16 v58, v39, v21, -v13
	v_mul_f16_sdwa v13, v39, v21 dst_sel:DWORD dst_unused:UNUSED_PAD src0_sel:WORD_1 src1_sel:DWORD
	v_lshlrev_b64 v[20:21], 2, v[37:38]
	v_fma_f16 v39, v39, v49, v13
	v_add_co_u32_e64 v20, s[2:3], s12, v20
	v_addc_co_u32_e64 v21, s[2:3], v54, v21, s[2:3]
	global_load_dwordx2 v[20:21], v[20:21], off offset:600
	v_mul_f16_sdwa v13, v40, v50 dst_sel:DWORD dst_unused:UNUSED_PAD src0_sel:WORD_1 src1_sel:DWORD
	v_fma_f16 v49, v40, v18, -v13
	v_mul_f16_sdwa v13, v40, v18 dst_sel:DWORD dst_unused:UNUSED_PAD src0_sel:WORD_1 src1_sel:DWORD
	v_fma_f16 v40, v40, v50, v13
	s_mov_b32 s2, 0xcccd
	s_mov_b32 s3, 0xbaee
	s_waitcnt vmcnt(0)
	v_mul_f16_sdwa v13, v20, v51 dst_sel:DWORD dst_unused:UNUSED_PAD src0_sel:WORD_1 src1_sel:DWORD
	v_fma_f16 v37, v20, v16, -v13
	v_mul_f16_sdwa v13, v20, v16 dst_sel:DWORD dst_unused:UNUSED_PAD src0_sel:WORD_1 src1_sel:DWORD
	v_fma_f16 v16, v20, v51, v13
	v_mul_f16_sdwa v13, v21, v52 dst_sel:DWORD dst_unused:UNUSED_PAD src0_sel:WORD_1 src1_sel:DWORD
	v_fma_f16 v20, v21, v19, -v13
	v_mul_f16_sdwa v13, v21, v19 dst_sel:DWORD dst_unused:UNUSED_PAD src0_sel:WORD_1 src1_sel:DWORD
	v_fma_f16 v21, v21, v52, v13
	v_mul_u32_u24_sdwa v13, v27, s2 dst_sel:DWORD dst_unused:UNUSED_PAD src0_sel:WORD_0 src1_sel:DWORD
	v_lshrrev_b32_e32 v38, 23, v13
	v_mul_lo_u16_e32 v13, 0xa0, v38
	v_sub_u16_e32 v50, v27, v13
	v_lshlrev_b32_e32 v13, 3, v50
	global_load_dwordx2 v[18:19], v13, s[12:13] offset:600
	s_waitcnt vmcnt(0)
	v_mul_f16_sdwa v13, v18, v53 dst_sel:DWORD dst_unused:UNUSED_PAD src0_sel:WORD_1 src1_sel:DWORD
	v_fma_f16 v51, v18, v17, -v13
	v_mul_f16_sdwa v13, v18, v17 dst_sel:DWORD dst_unused:UNUSED_PAD src0_sel:WORD_1 src1_sel:DWORD
	v_fma_f16 v17, v18, v53, v13
	v_mul_f16_sdwa v13, v43, v19 dst_sel:DWORD dst_unused:UNUSED_PAD src0_sel:DWORD src1_sel:WORD_1
	v_fma_f16 v18, v14, v19, -v13
	v_mul_f16_sdwa v13, v14, v19 dst_sel:DWORD dst_unused:UNUSED_PAD src0_sel:DWORD src1_sel:WORD_1
	v_fma_f16 v19, v43, v19, v13
	v_mul_u32_u24_sdwa v13, v25, s2 dst_sel:DWORD dst_unused:UNUSED_PAD src0_sel:WORD_0 src1_sel:DWORD
	v_lshrrev_b32_e32 v13, 23, v13
	v_mul_lo_u16_e32 v13, 0xa0, v13
	v_sub_u16_e32 v43, v25, v13
	v_lshlrev_b32_e32 v13, 3, v43
	global_load_dwordx2 v[13:14], v13, s[12:13] offset:600
	s_waitcnt vmcnt(0)
	v_mul_f16_sdwa v52, v45, v13 dst_sel:DWORD dst_unused:UNUSED_PAD src0_sel:DWORD src1_sel:WORD_1
	v_fma_f16 v52, v12, v13, -v52
	v_mul_f16_sdwa v12, v12, v13 dst_sel:DWORD dst_unused:UNUSED_PAD src0_sel:DWORD src1_sel:WORD_1
	v_fma_f16 v45, v45, v13, v12
	v_mul_f16_sdwa v12, v46, v14 dst_sel:DWORD dst_unused:UNUSED_PAD src0_sel:DWORD src1_sel:WORD_1
	v_fma_f16 v53, v15, v14, -v12
	v_mul_f16_sdwa v12, v15, v14 dst_sel:DWORD dst_unused:UNUSED_PAD src0_sel:DWORD src1_sel:WORD_1
	v_fma_f16 v15, v46, v14, v12
	v_mul_u32_u24_sdwa v12, v4, s2 dst_sel:DWORD dst_unused:UNUSED_PAD src0_sel:WORD_0 src1_sel:DWORD
	v_lshrrev_b32_e32 v12, 23, v12
	v_mul_lo_u16_e32 v12, 0xa0, v12
	v_sub_u16_e32 v12, v4, v12
	v_lshlrev_b32_e32 v13, 3, v12
	global_load_dwordx2 v[13:14], v13, s[12:13] offset:600
	s_movk_i32 s2, 0x3aee
	s_waitcnt vmcnt(0)
	s_barrier
	v_mul_f16_sdwa v46, v32, v13 dst_sel:DWORD dst_unused:UNUSED_PAD src0_sel:DWORD src1_sel:WORD_1
	v_fma_f16 v46, v24, v13, -v46
	v_mul_f16_sdwa v24, v24, v13 dst_sel:DWORD dst_unused:UNUSED_PAD src0_sel:DWORD src1_sel:WORD_1
	v_fma_f16 v13, v32, v13, v24
	v_mul_f16_sdwa v24, v31, v14 dst_sel:DWORD dst_unused:UNUSED_PAD src0_sel:DWORD src1_sel:WORD_1
	v_fma_f16 v32, v26, v14, -v24
	v_mul_f16_sdwa v24, v26, v14 dst_sel:DWORD dst_unused:UNUSED_PAD src0_sel:DWORD src1_sel:WORD_1
	v_fma_f16 v14, v31, v14, v24
	v_add_f16_e32 v24, v36, v55
	v_add_f16_e32 v54, v24, v56
	v_add_f16_e32 v24, v55, v56
	v_fma_f16 v24, v24, -0.5, v36
	v_sub_f16_e32 v26, v47, v48
	v_fma_f16 v36, v26, s2, v24
	v_fma_f16 v59, v26, s3, v24
	v_add_f16_e32 v24, v30, v47
	v_add_f16_e32 v60, v24, v48
	v_add_f16_e32 v24, v47, v48
	v_fma_f16 v24, v24, -0.5, v30
	v_sub_f16_e32 v26, v55, v56
	v_fma_f16 v47, v26, s3, v24
	;; [unrolled: 7-line block ×5, first 2 shown]
	v_fma_f16 v10, v24, s3, v10
	v_add_f16_e32 v24, v41, v16
	v_add_f16_e32 v16, v16, v21
	;; [unrolled: 1-line block ×3, first 2 shown]
	v_fma_f16 v16, v16, -0.5, v41
	v_sub_f16_e32 v20, v37, v20
	v_add_f16_e32 v24, v51, v18
	v_fma_f16 v21, v20, s3, v16
	v_fma_f16 v16, v20, s2, v16
	v_add_f16_e32 v20, v11, v51
	v_fma_f16 v11, v24, -0.5, v11
	v_sub_f16_e32 v24, v17, v19
	v_fma_f16 v37, v24, s2, v11
	v_fma_f16 v11, v24, s3, v11
	v_add_f16_e32 v24, v42, v17
	v_add_f16_e32 v41, v24, v19
	;; [unrolled: 1-line block ×4, first 2 shown]
	v_fma_f16 v24, v24, -0.5, v28
	v_sub_f16_e32 v26, v45, v15
	v_add_f16_e32 v20, v20, v18
	v_fma_f16 v17, v17, -0.5, v42
	v_sub_f16_e32 v18, v51, v18
	v_fma_f16 v42, v26, s2, v24
	v_fma_f16 v51, v26, s3, v24
	v_add_f16_e32 v26, v46, v32
	v_fma_f16 v26, v26, -0.5, v34
	v_sub_f16_e32 v29, v13, v14
	v_fma_f16 v19, v18, s3, v17
	v_fma_f16 v17, v18, s2, v17
	v_add_f16_e32 v18, v28, v52
	v_add_f16_e32 v24, v44, v45
	v_fma_f16 v28, v29, s2, v26
	v_fma_f16 v29, v29, s3, v26
	v_add_f16_e32 v26, v35, v13
	v_add_f16_e32 v13, v13, v14
	;; [unrolled: 1-line block ×5, first 2 shown]
	v_fma_f16 v13, v13, -0.5, v35
	v_sub_f16_e32 v14, v46, v32
	v_fma_f16 v15, v15, -0.5, v44
	v_sub_f16_e32 v24, v52, v53
	v_fma_f16 v30, v14, s3, v13
	v_fma_f16 v31, v14, s2, v13
	v_pack_b32_f16 v13, v54, v60
	v_pack_b32_f16 v14, v36, v47
	v_fma_f16 v44, v24, s3, v15
	v_fma_f16 v15, v24, s2, v15
	ds_write2_b32 v0, v13, v14 offset1:160
	v_pack_b32_f16 v13, v59, v48
	s_movk_i32 s2, 0x45
	ds_write_b32 v0, v13 offset:1280
	v_cmp_lt_u32_e64 s[2:3], s2, v3
	v_mov_b32_e32 v13, 0x780
	v_add_f16_e32 v24, v34, v46
	v_cndmask_b32_e64 v13, 0, v13, s[2:3]
	v_lshlrev_b32_e32 v14, 2, v57
	v_add_f16_e32 v24, v24, v32
	v_add3_u32 v13, 0, v13, v14
	v_pack_b32_f16 v14, v55, v62
	v_pack_b32_f16 v32, v56, v33
	ds_write2_b32 v13, v14, v32 offset1:160
	v_pack_b32_f16 v14, v61, v39
	ds_write_b32 v13, v14 offset:1280
	v_pack_b32_f16 v13, v40, v58
	v_pack_b32_f16 v14, v49, v21
	v_add_u32_e32 v21, 0x700, v0
	v_pack_b32_f16 v10, v10, v16
	ds_write2_b32 v21, v13, v14 offset0:52 offset1:212
	ds_write_b32 v0, v10 offset:3280
	v_mul_u32_u24_e32 v10, 0x780, v38
	v_lshlrev_b32_e32 v13, 2, v50
	v_add3_u32 v10, 0, v10, v13
	v_pack_b32_f16 v13, v20, v41
	v_pack_b32_f16 v14, v37, v19
	;; [unrolled: 1-line block ×3, first 2 shown]
	v_add_f16_e32 v18, v18, v53
	ds_write2_b32 v10, v13, v14 offset1:160
	ds_write_b32 v10, v11 offset:1280
	v_lshl_add_u32 v10, v43, 2, 0
	v_pack_b32_f16 v11, v18, v63
	v_pack_b32_f16 v13, v42, v44
	v_add_u32_e32 v14, 0xe00, v10
	ds_write2_b32 v14, v11, v13 offset0:64 offset1:224
	v_pack_b32_f16 v11, v51, v15
	ds_write_b32 v10, v11 offset:5120
	s_and_saveexec_b64 s[2:3], vcc
	s_cbranch_execz .LBB0_19
; %bb.18:
	v_lshl_add_u32 v10, v12, 2, 0
	s_mov_b32 s6, 0x5040100
	v_perm_b32 v11, v26, v24, s6
	v_perm_b32 v12, v30, v28, s6
	v_add_u32_e32 v13, 0xe00, v10
	ds_write2_b32 v13, v11, v12 offset0:64 offset1:224
	v_perm_b32 v11, v31, v29, s6
	ds_write_b32 v10, v11 offset:5120
.LBB0_19:
	s_or_b64 exec, exec, s[2:3]
	v_add_u32_e32 v10, 0x600, v0
	s_waitcnt lgkmcnt(0)
	s_barrier
	ds_read2_b32 v[20:21], v10 offset0:96 offset1:186
	v_add_u32_e32 v10, 0xc00, v0
	v_add_u32_e32 v14, 0x800, v0
	ds_read2_b32 v[12:13], v10 offset0:72 offset1:192
	v_add_u32_e32 v10, 0x1000, v0
	v_add_u32_e32 v32, 0x200, v23
	ds_read2_b32 v[16:17], v14 offset0:148 offset1:238
	v_add_u32_e32 v14, 0x1200, v0
	ds_read2_b32 v[18:19], v10 offset0:26 offset1:116
	ds_read2_b32 v[10:11], v32 offset0:52 offset1:142
	;; [unrolled: 1-line block ×3, first 2 shown]
	ds_read_b32 v35, v0
	ds_read_b32 v34, v22
	ds_read_b32 v33, v23 offset:1440
	s_and_saveexec_b64 s[2:3], vcc
	s_cbranch_execz .LBB0_21
; %bb.20:
	ds_read_b32 v24, v23 offset:1800
	ds_read_b32 v28, v0 offset:3720
	;; [unrolled: 1-line block ×3, first 2 shown]
	s_waitcnt lgkmcnt(2)
	v_lshrrev_b32_e32 v26, 16, v24
	s_waitcnt lgkmcnt(1)
	v_lshrrev_b32_e32 v30, 16, v28
	;; [unrolled: 2-line block ×3, first 2 shown]
.LBB0_21:
	s_or_b64 exec, exec, s[2:3]
	global_load_dwordx2 v[36:37], v[8:9], off offset:1880
	v_lshlrev_b32_e32 v8, 1, v7
	v_mov_b32_e32 v9, 0
	v_lshlrev_b64 v[38:39], 2, v[8:9]
	v_mov_b32_e32 v8, 0x168
	v_lshl_add_u32 v8, v3, 1, v8
	v_mov_b32_e32 v46, s13
	v_add_co_u32_e64 v38, s[2:3], s12, v38
	v_lshlrev_b64 v[40:41], 2, v[8:9]
	v_addc_co_u32_e64 v39, s[2:3], v46, v39, s[2:3]
	v_lshlrev_b32_e32 v8, 1, v27
	v_add_co_u32_e64 v40, s[2:3], s12, v40
	v_lshlrev_b64 v[42:43], 2, v[8:9]
	v_addc_co_u32_e64 v41, s[2:3], v46, v41, s[2:3]
	v_lshlrev_b32_e32 v8, 1, v25
	v_add_co_u32_e64 v42, s[2:3], s12, v42
	v_lshlrev_b64 v[44:45], 2, v[8:9]
	global_load_dwordx2 v[38:39], v[38:39], off offset:1880
	v_addc_co_u32_e64 v43, s[2:3], v46, v43, s[2:3]
	global_load_dwordx2 v[40:41], v[40:41], off offset:1880
	v_add_co_u32_e64 v44, s[2:3], s12, v44
	global_load_dwordx2 v[42:43], v[42:43], off offset:1880
	v_addc_co_u32_e64 v45, s[2:3], v46, v45, s[2:3]
	global_load_dwordx2 v[44:45], v[44:45], off offset:1880
	s_waitcnt lgkmcnt(7)
	v_lshrrev_b32_e32 v56, 16, v13
	v_lshrrev_b32_e32 v57, 16, v20
	s_waitcnt lgkmcnt(5)
	v_lshrrev_b32_e32 v54, 16, v18
	v_lshrrev_b32_e32 v55, 16, v21
	;; [unrolled: 1-line block ×3, first 2 shown]
	s_waitcnt lgkmcnt(3)
	v_lshrrev_b32_e32 v47, 16, v14
	v_lshrrev_b32_e32 v52, 16, v19
	;; [unrolled: 1-line block ×4, first 2 shown]
	s_waitcnt lgkmcnt(2)
	v_lshrrev_b32_e32 v8, 16, v35
	s_movk_i32 s6, 0x3aee
	s_mov_b32 s7, 0xbaee
	s_waitcnt lgkmcnt(1)
	v_lshrrev_b32_e32 v25, 16, v34
	v_lshrrev_b32_e32 v27, 16, v10
	;; [unrolled: 1-line block ×4, first 2 shown]
	s_waitcnt lgkmcnt(0)
	v_lshrrev_b32_e32 v48, 16, v33
	s_waitcnt vmcnt(0)
	s_barrier
	v_mul_f16_sdwa v58, v36, v57 dst_sel:DWORD dst_unused:UNUSED_PAD src0_sel:WORD_1 src1_sel:DWORD
	v_mul_f16_sdwa v59, v36, v20 dst_sel:DWORD dst_unused:UNUSED_PAD src0_sel:WORD_1 src1_sel:DWORD
	;; [unrolled: 1-line block ×4, first 2 shown]
	v_fma_f16 v20, v36, v20, -v58
	v_fma_f16 v36, v36, v57, v59
	v_fma_f16 v13, v37, v13, -v60
	v_fma_f16 v37, v37, v56, v61
	v_add_f16_e32 v56, v35, v20
	v_add_f16_e32 v56, v56, v13
	v_mul_f16_sdwa v57, v38, v55 dst_sel:DWORD dst_unused:UNUSED_PAD src0_sel:WORD_1 src1_sel:DWORD
	v_mul_f16_sdwa v58, v38, v21 dst_sel:DWORD dst_unused:UNUSED_PAD src0_sel:WORD_1 src1_sel:DWORD
	;; [unrolled: 1-line block ×4, first 2 shown]
	v_fma_f16 v21, v38, v21, -v57
	v_fma_f16 v38, v38, v55, v58
	v_fma_f16 v18, v39, v18, -v59
	v_fma_f16 v39, v39, v54, v60
	v_mul_f16_sdwa v54, v40, v53 dst_sel:DWORD dst_unused:UNUSED_PAD src0_sel:WORD_1 src1_sel:DWORD
	v_mul_f16_sdwa v55, v40, v16 dst_sel:DWORD dst_unused:UNUSED_PAD src0_sel:WORD_1 src1_sel:DWORD
	;; [unrolled: 1-line block ×4, first 2 shown]
	v_fma_f16 v16, v40, v16, -v54
	v_fma_f16 v40, v40, v53, v55
	v_mul_f16_sdwa v54, v47, v43 dst_sel:DWORD dst_unused:UNUSED_PAD src0_sel:DWORD src1_sel:WORD_1
	v_mul_f16_sdwa v55, v14, v43 dst_sel:DWORD dst_unused:UNUSED_PAD src0_sel:DWORD src1_sel:WORD_1
	v_fma_f16 v19, v41, v19, -v57
	v_fma_f16 v41, v41, v52, v58
	v_mul_f16_sdwa v52, v42, v51 dst_sel:DWORD dst_unused:UNUSED_PAD src0_sel:WORD_1 src1_sel:DWORD
	v_mul_f16_sdwa v53, v42, v17 dst_sel:DWORD dst_unused:UNUSED_PAD src0_sel:WORD_1 src1_sel:DWORD
	v_fma_f16 v14, v14, v43, -v54
	v_fma_f16 v43, v47, v43, v55
	v_mul_f16_sdwa v47, v49, v44 dst_sel:DWORD dst_unused:UNUSED_PAD src0_sel:DWORD src1_sel:WORD_1
	v_fma_f16 v17, v42, v17, -v52
	v_fma_f16 v42, v42, v51, v53
	v_mul_f16_sdwa v51, v12, v44 dst_sel:DWORD dst_unused:UNUSED_PAD src0_sel:DWORD src1_sel:WORD_1
	v_fma_f16 v12, v12, v44, -v47
	v_add_f16_e32 v47, v20, v13
	v_fma_f16 v35, v47, -0.5, v35
	v_sub_f16_e32 v47, v36, v37
	v_fma_f16 v44, v49, v44, v51
	v_fma_f16 v49, v47, s6, v35
	;; [unrolled: 1-line block ×3, first 2 shown]
	v_add_f16_e32 v47, v8, v36
	v_add_f16_e32 v36, v36, v37
	v_fma_f16 v8, v36, -0.5, v8
	v_sub_f16_e32 v13, v20, v13
	v_add_f16_e32 v36, v21, v18
	v_fma_f16 v20, v13, s7, v8
	v_fma_f16 v8, v13, s6, v8
	v_add_f16_e32 v13, v34, v21
	v_fma_f16 v34, v36, -0.5, v34
	v_sub_f16_e32 v36, v38, v39
	v_add_f16_e32 v47, v47, v37
	v_fma_f16 v37, v36, s6, v34
	v_fma_f16 v34, v36, s7, v34
	v_add_f16_e32 v36, v25, v38
	v_add_f16_e32 v38, v38, v39
	;; [unrolled: 1-line block ×3, first 2 shown]
	v_fma_f16 v25, v38, -0.5, v25
	v_sub_f16_e32 v18, v21, v18
	v_add_f16_e32 v38, v16, v19
	v_fma_f16 v21, v18, s7, v25
	v_fma_f16 v18, v18, s6, v25
	v_add_f16_e32 v25, v10, v16
	v_fma_f16 v10, v38, -0.5, v10
	v_sub_f16_e32 v38, v40, v41
	v_add_f16_e32 v36, v36, v39
	v_fma_f16 v39, v38, s6, v10
	v_fma_f16 v10, v38, s7, v10
	v_add_f16_e32 v38, v27, v40
	v_add_f16_e32 v40, v40, v41
	v_fma_f16 v27, v40, -0.5, v27
	v_sub_f16_e32 v16, v16, v19
	v_add_f16_e32 v40, v17, v14
	v_mul_f16_sdwa v52, v50, v45 dst_sel:DWORD dst_unused:UNUSED_PAD src0_sel:DWORD src1_sel:WORD_1
	v_add_f16_e32 v25, v25, v19
	v_fma_f16 v19, v16, s7, v27
	v_fma_f16 v16, v16, s6, v27
	v_add_f16_e32 v27, v11, v17
	v_fma_f16 v11, v40, -0.5, v11
	v_sub_f16_e32 v40, v42, v43
	v_mul_f16_sdwa v53, v15, v45 dst_sel:DWORD dst_unused:UNUSED_PAD src0_sel:DWORD src1_sel:WORD_1
	v_fma_f16 v15, v15, v45, -v52
	v_add_f16_e32 v38, v38, v41
	v_fma_f16 v41, v40, s6, v11
	v_fma_f16 v11, v40, s7, v11
	v_add_f16_e32 v40, v46, v42
	v_add_f16_e32 v42, v42, v43
	v_fma_f16 v45, v50, v45, v53
	v_add_f16_e32 v27, v27, v14
	v_add_f16_e32 v40, v40, v43
	v_fma_f16 v42, v42, -0.5, v46
	v_sub_f16_e32 v14, v17, v14
	v_add_f16_e32 v43, v12, v15
	v_fma_f16 v17, v14, s7, v42
	v_fma_f16 v14, v14, s6, v42
	v_add_f16_e32 v42, v33, v12
	v_fma_f16 v33, v43, -0.5, v33
	v_sub_f16_e32 v43, v44, v45
	v_fma_f16 v46, v43, s6, v33
	v_fma_f16 v33, v43, s7, v33
	v_add_f16_e32 v43, v48, v44
	v_add_f16_e32 v44, v44, v45
	v_fma_f16 v44, v44, -0.5, v48
	v_sub_f16_e32 v12, v12, v15
	v_pack_b32_f16 v8, v35, v8
	v_add_f16_e32 v42, v42, v15
	v_fma_f16 v15, v12, s7, v44
	v_fma_f16 v12, v12, s6, v44
	v_pack_b32_f16 v44, v56, v47
	v_pack_b32_f16 v20, v49, v20
	ds_write_b32 v0, v8 offset:3840
	v_pack_b32_f16 v8, v13, v36
	ds_write_b32 v0, v44
	ds_write_b32 v0, v20 offset:1920
	ds_write_b32 v22, v8
	v_pack_b32_f16 v8, v37, v21
	ds_write_b32 v22, v8 offset:1920
	v_pack_b32_f16 v8, v34, v18
	ds_write_b32 v22, v8 offset:3840
	v_pack_b32_f16 v8, v25, v38
	v_pack_b32_f16 v10, v10, v16
	;; [unrolled: 1-line block ×4, first 2 shown]
	ds_write2_b32 v32, v8, v16 offset0:52 offset1:142
	v_pack_b32_f16 v8, v41, v17
	v_add_u32_e32 v16, 0x800, v23
	v_add_f16_e32 v43, v43, v45
	ds_write2_b32 v16, v13, v8 offset0:148 offset1:238
	v_pack_b32_f16 v8, v11, v14
	v_add_u32_e32 v11, 0x1000, v23
	ds_write2_b32 v11, v10, v8 offset0:116 offset1:206
	v_pack_b32_f16 v8, v42, v43
	ds_write_b32 v23, v8 offset:1440
	v_pack_b32_f16 v8, v46, v15
	ds_write_b32 v23, v8 offset:3360
	;; [unrolled: 2-line block ×3, first 2 shown]
	s_and_saveexec_b64 s[2:3], vcc
	s_cbranch_execz .LBB0_23
; %bb.22:
	v_subrev_u32_e32 v8, 30, v3
	v_cndmask_b32_e32 v4, v8, v4, vcc
	v_lshlrev_b32_e32 v8, 1, v4
	v_lshlrev_b64 v[8:9], 2, v[8:9]
	v_mov_b32_e32 v4, s13
	v_add_co_u32_e32 v8, vcc, s12, v8
	v_addc_co_u32_e32 v9, vcc, v4, v9, vcc
	global_load_dwordx2 v[8:9], v[8:9], off offset:1880
	s_waitcnt vmcnt(0)
	v_mul_f16_sdwa v4, v29, v9 dst_sel:DWORD dst_unused:UNUSED_PAD src0_sel:DWORD src1_sel:WORD_1
	v_mul_f16_sdwa v10, v28, v8 dst_sel:DWORD dst_unused:UNUSED_PAD src0_sel:DWORD src1_sel:WORD_1
	v_mul_f16_sdwa v11, v30, v8 dst_sel:DWORD dst_unused:UNUSED_PAD src0_sel:DWORD src1_sel:WORD_1
	v_mul_f16_sdwa v12, v31, v9 dst_sel:DWORD dst_unused:UNUSED_PAD src0_sel:DWORD src1_sel:WORD_1
	v_fma_f16 v4, v31, v9, v4
	v_fma_f16 v10, v30, v8, v10
	v_fma_f16 v8, v28, v8, -v11
	v_fma_f16 v9, v29, v9, -v12
	v_add_f16_e32 v11, v26, v10
	v_add_f16_e32 v12, v24, v8
	v_sub_f16_e32 v13, v8, v9
	v_add_f16_e32 v14, v10, v4
	v_add_f16_e32 v8, v8, v9
	v_sub_f16_e32 v10, v10, v4
	v_add_f16_e32 v4, v11, v4
	v_add_f16_e32 v9, v12, v9
	v_fma_f16 v11, v14, -0.5, v26
	v_fma_f16 v8, v8, -0.5, v24
	v_fma_f16 v12, v13, s6, v11
	v_fma_f16 v11, v13, s7, v11
	;; [unrolled: 1-line block ×4, first 2 shown]
	v_pack_b32_f16 v4, v9, v4
	ds_write_b32 v0, v4 offset:1800
	v_pack_b32_f16 v4, v8, v11
	v_pack_b32_f16 v8, v13, v12
	ds_write_b32 v0, v4 offset:3720
	ds_write_b32 v0, v8 offset:5640
.LBB0_23:
	s_or_b64 exec, exec, s[2:3]
	s_waitcnt lgkmcnt(0)
	s_barrier
	ds_read_b32 v8, v0
	s_add_u32 s6, s12, 0x1658
	v_lshlrev_b32_e32 v4, 2, v3
	s_addc_u32 s7, s13, 0
	v_sub_u32_e32 v11, 0, v4
	v_cmp_ne_u32_e32 vcc, 0, v3
                                        ; implicit-def: $vgpr14
                                        ; implicit-def: $vgpr12
                                        ; implicit-def: $vgpr13
                                        ; implicit-def: $vgpr9_vgpr10
	s_and_saveexec_b64 s[2:3], vcc
	s_xor_b64 s[2:3], exec, s[2:3]
	s_cbranch_execz .LBB0_25
; %bb.24:
	v_mov_b32_e32 v4, 0
	v_lshlrev_b64 v[9:10], 2, v[3:4]
	v_mov_b32_e32 v12, s7
	v_add_co_u32_e32 v9, vcc, s6, v9
	v_addc_co_u32_e32 v10, vcc, v12, v10, vcc
	global_load_dword v9, v[9:10], off
	ds_read_b32 v10, v11 offset:5760
	s_mov_b32 s8, 0xffff
	s_waitcnt lgkmcnt(0)
	v_pk_add_f16 v12, v8, v10 neg_lo:[0,1] neg_hi:[0,1]
	v_pk_add_f16 v8, v10, v8
	v_bfi_b32 v10, s8, v12, v8
	v_bfi_b32 v8, s8, v8, v12
	v_pk_mul_f16 v10, v10, 0.5 op_sel_hi:[1,0]
	v_pk_mul_f16 v12, v8, 0.5 op_sel_hi:[1,0]
	s_waitcnt vmcnt(0)
	v_pk_mul_f16 v13, v9, v10 op_sel:[1,0]
	v_pk_mul_f16 v9, v9, v10 op_sel_hi:[0,1]
	v_pk_fma_f16 v8, v8, 0.5, v13 op_sel_hi:[1,0,1]
	v_sub_f16_e32 v10, v12, v13
	v_sub_f16_sdwa v13, v13, v12 dst_sel:DWORD dst_unused:UNUSED_PAD src0_sel:WORD_1 src1_sel:WORD_1
	v_pk_add_f16 v14, v8, v9 op_sel:[0,1] op_sel_hi:[1,0]
	v_pk_add_f16 v8, v8, v9 op_sel:[0,1] op_sel_hi:[1,0] neg_lo:[0,1] neg_hi:[0,1]
	v_sub_f16_sdwa v12, v10, v9 dst_sel:DWORD dst_unused:UNUSED_PAD src0_sel:DWORD src1_sel:WORD_1
	v_sub_f16_e32 v13, v13, v9
	v_mov_b32_e32 v10, v4
	v_bfi_b32 v14, s8, v14, v8
	v_mov_b32_e32 v9, v3
                                        ; implicit-def: $vgpr8
.LBB0_25:
	s_andn2_saveexec_b64 s[2:3], s[2:3]
	s_cbranch_execz .LBB0_27
; %bb.26:
	v_mov_b32_e32 v13, 0
	ds_read_u16 v4, v13 offset:2882
	s_waitcnt lgkmcnt(1)
	v_alignbit_b32 v14, s0, v8, 16
	v_sub_f16_sdwa v12, v8, v8 dst_sel:DWORD dst_unused:UNUSED_PAD src0_sel:DWORD src1_sel:WORD_1
	v_mov_b32_e32 v9, 0
	v_pk_add_f16 v8, v14, v8
	v_mov_b32_e32 v10, 0
	s_waitcnt lgkmcnt(0)
	v_xor_b32_e32 v4, 0x8000, v4
	v_pack_b32_f16 v14, v8, 0
	ds_write_b16 v13, v4 offset:2882
.LBB0_27:
	s_or_b64 exec, exec, s[2:3]
	s_waitcnt lgkmcnt(0)
	v_mov_b32_e32 v8, 0
	v_lshlrev_b64 v[15:16], 2, v[7:8]
	v_mov_b32_e32 v4, s7
	v_add_co_u32_e32 v15, vcc, s6, v15
	v_addc_co_u32_e32 v16, vcc, v4, v16, vcc
	global_load_dword v4, v[15:16], off
	v_lshlrev_b64 v[9:10], 2, v[9:10]
	v_mov_b32_e32 v7, s7
	v_add_co_u32_e32 v9, vcc, s6, v9
	v_addc_co_u32_e32 v10, vcc, v7, v10, vcc
	global_load_dword v7, v[9:10], off offset:720
	global_load_dword v15, v[9:10], off offset:1080
	ds_write_b16 v11, v13 offset:5762
	ds_write_b32 v0, v14
	ds_write_b16 v11, v12 offset:5760
	ds_read_b32 v12, v22
	ds_read_b32 v13, v11 offset:5400
	global_load_dword v14, v[9:10], off offset:1440
	global_load_dword v16, v[9:10], off offset:1800
	global_load_dword v17, v[9:10], off offset:2160
	global_load_dword v18, v[9:10], off offset:2520
	s_mov_b32 s2, 0xffff
	s_waitcnt lgkmcnt(0)
	v_pk_add_f16 v9, v12, v13 neg_lo:[0,1] neg_hi:[0,1]
	v_pk_add_f16 v10, v12, v13
	v_bfi_b32 v12, s2, v9, v10
	v_bfi_b32 v9, s2, v10, v9
	v_pk_mul_f16 v10, v12, 0.5 op_sel_hi:[1,0]
	v_pk_mul_f16 v9, v9, 0.5 op_sel_hi:[1,0]
	s_waitcnt vmcnt(6)
	v_pk_fma_f16 v12, v4, v10, v9 op_sel:[1,0,0]
	v_pk_mul_f16 v13, v4, v10 op_sel_hi:[0,1]
	v_pk_fma_f16 v19, v4, v10, v9 op_sel:[1,0,0] neg_lo:[1,0,0] neg_hi:[1,0,0]
	v_pk_fma_f16 v4, v4, v10, v9 op_sel:[1,0,0] neg_lo:[0,0,1] neg_hi:[0,0,1]
	v_pk_add_f16 v9, v12, v13 op_sel:[0,1] op_sel_hi:[1,0]
	v_pk_add_f16 v10, v12, v13 op_sel:[0,1] op_sel_hi:[1,0] neg_lo:[0,1] neg_hi:[0,1]
	v_pk_add_f16 v12, v19, v13 op_sel:[0,1] op_sel_hi:[1,0] neg_lo:[0,1] neg_hi:[0,1]
	;; [unrolled: 1-line block ×3, first 2 shown]
	v_bfi_b32 v9, s2, v9, v10
	v_bfi_b32 v4, s2, v12, v4
	ds_write_b32 v22, v9
	ds_write_b32 v11, v4 offset:5400
	ds_read_b32 v4, v23 offset:720
	ds_read_b32 v9, v11 offset:5040
	s_waitcnt lgkmcnt(0)
	v_pk_add_f16 v10, v4, v9 neg_lo:[0,1] neg_hi:[0,1]
	v_pk_add_f16 v4, v4, v9
	v_bfi_b32 v9, s2, v10, v4
	v_bfi_b32 v4, s2, v4, v10
	v_pk_mul_f16 v9, v9, 0.5 op_sel_hi:[1,0]
	v_pk_mul_f16 v10, v4, 0.5 op_sel_hi:[1,0]
	s_waitcnt vmcnt(5)
	v_pk_mul_f16 v12, v7, v9 op_sel:[1,0]
	v_pk_mul_f16 v7, v7, v9 op_sel_hi:[0,1]
	v_pk_fma_f16 v4, v4, 0.5, v12 op_sel_hi:[1,0,1]
	v_sub_f16_e32 v9, v10, v12
	v_sub_f16_sdwa v10, v12, v10 dst_sel:DWORD dst_unused:UNUSED_PAD src0_sel:WORD_1 src1_sel:WORD_1
	v_pk_add_f16 v12, v4, v7 op_sel:[0,1] op_sel_hi:[1,0]
	v_pk_add_f16 v4, v4, v7 op_sel:[0,1] op_sel_hi:[1,0] neg_lo:[0,1] neg_hi:[0,1]
	v_sub_f16_sdwa v9, v9, v7 dst_sel:DWORD dst_unused:UNUSED_PAD src0_sel:DWORD src1_sel:WORD_1
	v_sub_f16_e32 v7, v10, v7
	v_bfi_b32 v4, s2, v12, v4
	ds_write_b16 v11, v7 offset:5042
	ds_write_b32 v23, v4 offset:720
	ds_write_b16 v11, v9 offset:5040
	ds_read_b32 v4, v23 offset:1080
	ds_read_b32 v7, v11 offset:4680
	s_waitcnt lgkmcnt(0)
	v_pk_add_f16 v9, v4, v7 neg_lo:[0,1] neg_hi:[0,1]
	v_pk_add_f16 v4, v4, v7
	v_bfi_b32 v7, s2, v9, v4
	v_bfi_b32 v4, s2, v4, v9
	v_pk_mul_f16 v7, v7, 0.5 op_sel_hi:[1,0]
	v_pk_mul_f16 v9, v4, 0.5 op_sel_hi:[1,0]
	s_waitcnt vmcnt(4)
	v_pk_mul_f16 v10, v15, v7 op_sel:[1,0]
	v_pk_mul_f16 v7, v15, v7 op_sel_hi:[0,1]
	v_pk_fma_f16 v4, v4, 0.5, v10 op_sel_hi:[1,0,1]
	v_sub_f16_e32 v12, v9, v10
	v_sub_f16_sdwa v9, v10, v9 dst_sel:DWORD dst_unused:UNUSED_PAD src0_sel:WORD_1 src1_sel:WORD_1
	v_pk_add_f16 v10, v4, v7 op_sel:[0,1] op_sel_hi:[1,0]
	v_pk_add_f16 v4, v4, v7 op_sel:[0,1] op_sel_hi:[1,0] neg_lo:[0,1] neg_hi:[0,1]
	v_sub_f16_sdwa v12, v12, v7 dst_sel:DWORD dst_unused:UNUSED_PAD src0_sel:DWORD src1_sel:WORD_1
	v_sub_f16_e32 v7, v9, v7
	v_bfi_b32 v4, s2, v10, v4
	ds_write_b16 v11, v7 offset:4682
	ds_write_b32 v23, v4 offset:1080
	ds_write_b16 v11, v12 offset:4680
	ds_read_b32 v4, v23 offset:1440
	ds_read_b32 v7, v11 offset:4320
	s_waitcnt lgkmcnt(0)
	v_pk_add_f16 v9, v4, v7 neg_lo:[0,1] neg_hi:[0,1]
	v_pk_add_f16 v4, v4, v7
	v_bfi_b32 v7, s2, v9, v4
	v_bfi_b32 v4, s2, v4, v9
	v_pk_mul_f16 v7, v7, 0.5 op_sel_hi:[1,0]
	v_pk_mul_f16 v4, v4, 0.5 op_sel_hi:[1,0]
	s_waitcnt vmcnt(3)
	v_pk_fma_f16 v9, v14, v7, v4 op_sel:[1,0,0]
	v_pk_mul_f16 v10, v14, v7 op_sel_hi:[0,1]
	v_pk_fma_f16 v12, v14, v7, v4 op_sel:[1,0,0] neg_lo:[1,0,0] neg_hi:[1,0,0]
	v_pk_fma_f16 v4, v14, v7, v4 op_sel:[1,0,0] neg_lo:[0,0,1] neg_hi:[0,0,1]
	v_pk_add_f16 v7, v9, v10 op_sel:[0,1] op_sel_hi:[1,0]
	v_pk_add_f16 v9, v9, v10 op_sel:[0,1] op_sel_hi:[1,0] neg_lo:[0,1] neg_hi:[0,1]
	v_pk_add_f16 v12, v12, v10 op_sel:[0,1] op_sel_hi:[1,0] neg_lo:[0,1] neg_hi:[0,1]
	v_pk_add_f16 v4, v4, v10 op_sel:[0,1] op_sel_hi:[1,0] neg_lo:[0,1] neg_hi:[0,1]
	v_bfi_b32 v7, s2, v7, v9
	v_bfi_b32 v4, s2, v12, v4
	ds_write_b32 v23, v7 offset:1440
	ds_write_b32 v11, v4 offset:4320
	ds_read_b32 v4, v23 offset:1800
	ds_read_b32 v7, v11 offset:3960
	s_waitcnt lgkmcnt(0)
	v_pk_add_f16 v9, v4, v7 neg_lo:[0,1] neg_hi:[0,1]
	v_pk_add_f16 v4, v4, v7
	v_bfi_b32 v7, s2, v9, v4
	v_bfi_b32 v4, s2, v4, v9
	v_pk_mul_f16 v7, v7, 0.5 op_sel_hi:[1,0]
	v_pk_mul_f16 v9, v4, 0.5 op_sel_hi:[1,0]
	s_waitcnt vmcnt(2)
	v_pk_mul_f16 v10, v16, v7 op_sel:[1,0]
	v_pk_mul_f16 v7, v16, v7 op_sel_hi:[0,1]
	v_pk_fma_f16 v4, v4, 0.5, v10 op_sel_hi:[1,0,1]
	v_sub_f16_e32 v12, v9, v10
	v_sub_f16_sdwa v9, v10, v9 dst_sel:DWORD dst_unused:UNUSED_PAD src0_sel:WORD_1 src1_sel:WORD_1
	v_pk_add_f16 v10, v4, v7 op_sel:[0,1] op_sel_hi:[1,0]
	v_pk_add_f16 v4, v4, v7 op_sel:[0,1] op_sel_hi:[1,0] neg_lo:[0,1] neg_hi:[0,1]
	v_sub_f16_sdwa v12, v12, v7 dst_sel:DWORD dst_unused:UNUSED_PAD src0_sel:DWORD src1_sel:WORD_1
	v_sub_f16_e32 v7, v9, v7
	v_bfi_b32 v4, s2, v10, v4
	ds_write_b16 v11, v7 offset:3962
	ds_write_b32 v23, v4 offset:1800
	ds_write_b16 v11, v12 offset:3960
	ds_read_b32 v4, v0 offset:2160
	ds_read_b32 v7, v11 offset:3600
	s_waitcnt lgkmcnt(0)
	v_pk_add_f16 v9, v4, v7 neg_lo:[0,1] neg_hi:[0,1]
	v_pk_add_f16 v4, v4, v7
	v_bfi_b32 v7, s2, v9, v4
	v_bfi_b32 v4, s2, v4, v9
	v_pk_mul_f16 v7, v7, 0.5 op_sel_hi:[1,0]
	v_pk_mul_f16 v9, v4, 0.5 op_sel_hi:[1,0]
	s_waitcnt vmcnt(1)
	v_pk_mul_f16 v10, v17, v7 op_sel:[1,0]
	v_pk_mul_f16 v7, v17, v7 op_sel_hi:[0,1]
	v_pk_fma_f16 v4, v4, 0.5, v10 op_sel_hi:[1,0,1]
	v_sub_f16_e32 v12, v9, v10
	v_sub_f16_sdwa v9, v10, v9 dst_sel:DWORD dst_unused:UNUSED_PAD src0_sel:WORD_1 src1_sel:WORD_1
	v_pk_add_f16 v10, v4, v7 op_sel:[0,1] op_sel_hi:[1,0]
	v_pk_add_f16 v4, v4, v7 op_sel:[0,1] op_sel_hi:[1,0] neg_lo:[0,1] neg_hi:[0,1]
	v_sub_f16_sdwa v12, v12, v7 dst_sel:DWORD dst_unused:UNUSED_PAD src0_sel:DWORD src1_sel:WORD_1
	v_sub_f16_e32 v7, v9, v7
	v_bfi_b32 v4, s2, v10, v4
	ds_write_b16 v11, v7 offset:3602
	ds_write_b32 v0, v4 offset:2160
	ds_write_b16 v11, v12 offset:3600
	ds_read_b32 v4, v0 offset:2520
	ds_read_b32 v7, v11 offset:3240
	s_waitcnt lgkmcnt(0)
	v_pk_add_f16 v9, v4, v7 neg_lo:[0,1] neg_hi:[0,1]
	v_pk_add_f16 v4, v4, v7
	v_bfi_b32 v7, s2, v9, v4
	v_bfi_b32 v4, s2, v4, v9
	v_pk_mul_f16 v7, v7, 0.5 op_sel_hi:[1,0]
	v_pk_mul_f16 v4, v4, 0.5 op_sel_hi:[1,0]
	s_waitcnt vmcnt(0)
	v_pk_fma_f16 v9, v18, v7, v4 op_sel:[1,0,0]
	v_pk_mul_f16 v10, v18, v7 op_sel_hi:[0,1]
	v_pk_fma_f16 v12, v18, v7, v4 op_sel:[1,0,0] neg_lo:[1,0,0] neg_hi:[1,0,0]
	v_pk_add_f16 v13, v9, v10 op_sel:[0,1] op_sel_hi:[1,0]
	v_pk_add_f16 v9, v9, v10 op_sel:[0,1] op_sel_hi:[1,0] neg_lo:[0,1] neg_hi:[0,1]
	v_pk_fma_f16 v4, v18, v7, v4 op_sel:[1,0,0] neg_lo:[0,0,1] neg_hi:[0,0,1]
	v_pk_add_f16 v12, v12, v10 op_sel:[0,1] op_sel_hi:[1,0] neg_lo:[0,1] neg_hi:[0,1]
	v_bfi_b32 v9, s2, v13, v9
	v_pk_add_f16 v4, v4, v10 op_sel:[0,1] op_sel_hi:[1,0] neg_lo:[0,1] neg_hi:[0,1]
	ds_write_b32 v0, v9 offset:2520
	v_bfi_b32 v0, s2, v12, v4
	ds_write_b32 v11, v0 offset:3240
	s_waitcnt lgkmcnt(0)
	s_barrier
	s_and_saveexec_b64 s[2:3], s[0:1]
	s_cbranch_execz .LBB0_30
; %bb.28:
	v_mul_lo_u32 v0, s5, v5
	v_mul_lo_u32 v4, s4, v6
	v_mad_u64_u32 v[5:6], s[0:1], s4, v5, 0
	v_lshl_add_u32 v11, v3, 2, 0
	v_lshlrev_b64 v[1:2], 2, v[1:2]
	v_add3_u32 v6, v6, v4, v0
	v_lshlrev_b64 v[5:6], 2, v[5:6]
	v_mov_b32_e32 v0, s11
	v_add_co_u32_e32 v5, vcc, s10, v5
	v_mov_b32_e32 v4, v8
	ds_read2_b32 v[9:10], v11 offset1:90
	v_addc_co_u32_e32 v0, vcc, v0, v6, vcc
	v_add_co_u32_e32 v1, vcc, v5, v1
	v_lshlrev_b64 v[4:5], 2, v[3:4]
	v_addc_co_u32_e32 v0, vcc, v0, v2, vcc
	v_add_co_u32_e32 v4, vcc, v1, v4
	v_addc_co_u32_e32 v5, vcc, v0, v5, vcc
	v_add_u32_e32 v7, 0x5a, v3
	s_waitcnt lgkmcnt(0)
	global_store_dword v[4:5], v9, off
	v_lshlrev_b64 v[4:5], 2, v[7:8]
	v_add_u32_e32 v2, 0x200, v11
	v_add_co_u32_e32 v4, vcc, v1, v4
	v_addc_co_u32_e32 v5, vcc, v0, v5, vcc
	global_store_dword v[4:5], v10, off
	v_add_u32_e32 v7, 0xb4, v3
	ds_read2_b32 v[4:5], v2 offset0:52 offset1:142
	v_lshlrev_b64 v[6:7], 2, v[7:8]
	v_add_u32_e32 v2, 0x400, v11
	v_add_co_u32_e32 v6, vcc, v1, v6
	v_addc_co_u32_e32 v7, vcc, v0, v7, vcc
	s_waitcnt lgkmcnt(0)
	global_store_dword v[6:7], v4, off
	v_add_u32_e32 v7, 0x10e, v3
	v_lshlrev_b64 v[6:7], 2, v[7:8]
	s_movk_i32 s0, 0x59
	v_add_co_u32_e32 v6, vcc, v1, v6
	v_addc_co_u32_e32 v7, vcc, v0, v7, vcc
	global_store_dword v[6:7], v5, off
	v_add_u32_e32 v7, 0x168, v3
	ds_read2_b32 v[4:5], v2 offset0:104 offset1:194
	v_lshlrev_b64 v[6:7], 2, v[7:8]
	v_add_u32_e32 v2, 0x800, v11
	v_add_co_u32_e32 v6, vcc, v1, v6
	v_addc_co_u32_e32 v7, vcc, v0, v7, vcc
	s_waitcnt lgkmcnt(0)
	global_store_dword v[6:7], v4, off
	v_add_u32_e32 v7, 0x1c2, v3
	v_lshlrev_b64 v[6:7], 2, v[7:8]
	v_add_co_u32_e32 v6, vcc, v1, v6
	v_addc_co_u32_e32 v7, vcc, v0, v7, vcc
	global_store_dword v[6:7], v5, off
	v_add_u32_e32 v7, 0x21c, v3
	ds_read2_b32 v[4:5], v2 offset0:28 offset1:118
	v_lshlrev_b64 v[6:7], 2, v[7:8]
	v_add_u32_e32 v2, 0xa00, v11
	v_add_co_u32_e32 v6, vcc, v1, v6
	v_addc_co_u32_e32 v7, vcc, v0, v7, vcc
	s_waitcnt lgkmcnt(0)
	global_store_dword v[6:7], v4, off
	v_add_u32_e32 v7, 0x276, v3
	v_lshlrev_b64 v[6:7], 2, v[7:8]
	;; [unrolled: 13-line block ×5, first 2 shown]
	v_add_co_u32_e32 v6, vcc, v1, v6
	v_addc_co_u32_e32 v7, vcc, v0, v7, vcc
	global_store_dword v[6:7], v5, off
	v_add_u32_e32 v7, 0x4ec, v3
	ds_read2_b32 v[4:5], v2 offset0:108 offset1:198
	v_lshlrev_b64 v[6:7], 2, v[7:8]
	v_add_co_u32_e32 v6, vcc, v1, v6
	v_addc_co_u32_e32 v7, vcc, v0, v7, vcc
	s_waitcnt lgkmcnt(0)
	global_store_dword v[6:7], v4, off
	v_add_u32_e32 v7, 0x546, v3
	v_lshlrev_b64 v[6:7], 2, v[7:8]
	v_add_co_u32_e32 v6, vcc, v1, v6
	v_addc_co_u32_e32 v7, vcc, v0, v7, vcc
	v_cmp_eq_u32_e32 vcc, s0, v3
	global_store_dword v[6:7], v5, off
	s_and_b64 exec, exec, vcc
	s_cbranch_execz .LBB0_30
; %bb.29:
	v_mov_b32_e32 v2, 0
	ds_read_b32 v3, v2 offset:5760
	v_add_co_u32_e32 v1, vcc, 0x1000, v1
	v_addc_co_u32_e32 v2, vcc, 0, v0, vcc
	s_waitcnt lgkmcnt(0)
	global_store_dword v[1:2], v3, off offset:1664
.LBB0_30:
	s_endpgm
	.section	.rodata,"a",@progbits
	.p2align	6, 0x0
	.amdhsa_kernel fft_rtc_fwd_len1440_factors_10_16_3_3_wgs_90_tpt_90_halfLds_half_op_CI_CI_unitstride_sbrr_R2C_dirReg
		.amdhsa_group_segment_fixed_size 0
		.amdhsa_private_segment_fixed_size 0
		.amdhsa_kernarg_size 104
		.amdhsa_user_sgpr_count 6
		.amdhsa_user_sgpr_private_segment_buffer 1
		.amdhsa_user_sgpr_dispatch_ptr 0
		.amdhsa_user_sgpr_queue_ptr 0
		.amdhsa_user_sgpr_kernarg_segment_ptr 1
		.amdhsa_user_sgpr_dispatch_id 0
		.amdhsa_user_sgpr_flat_scratch_init 0
		.amdhsa_user_sgpr_private_segment_size 0
		.amdhsa_uses_dynamic_stack 0
		.amdhsa_system_sgpr_private_segment_wavefront_offset 0
		.amdhsa_system_sgpr_workgroup_id_x 1
		.amdhsa_system_sgpr_workgroup_id_y 0
		.amdhsa_system_sgpr_workgroup_id_z 0
		.amdhsa_system_sgpr_workgroup_info 0
		.amdhsa_system_vgpr_workitem_id 0
		.amdhsa_next_free_vgpr 64
		.amdhsa_next_free_sgpr 28
		.amdhsa_reserve_vcc 1
		.amdhsa_reserve_flat_scratch 0
		.amdhsa_float_round_mode_32 0
		.amdhsa_float_round_mode_16_64 0
		.amdhsa_float_denorm_mode_32 3
		.amdhsa_float_denorm_mode_16_64 3
		.amdhsa_dx10_clamp 1
		.amdhsa_ieee_mode 1
		.amdhsa_fp16_overflow 0
		.amdhsa_exception_fp_ieee_invalid_op 0
		.amdhsa_exception_fp_denorm_src 0
		.amdhsa_exception_fp_ieee_div_zero 0
		.amdhsa_exception_fp_ieee_overflow 0
		.amdhsa_exception_fp_ieee_underflow 0
		.amdhsa_exception_fp_ieee_inexact 0
		.amdhsa_exception_int_div_zero 0
	.end_amdhsa_kernel
	.text
.Lfunc_end0:
	.size	fft_rtc_fwd_len1440_factors_10_16_3_3_wgs_90_tpt_90_halfLds_half_op_CI_CI_unitstride_sbrr_R2C_dirReg, .Lfunc_end0-fft_rtc_fwd_len1440_factors_10_16_3_3_wgs_90_tpt_90_halfLds_half_op_CI_CI_unitstride_sbrr_R2C_dirReg
                                        ; -- End function
	.section	.AMDGPU.csdata,"",@progbits
; Kernel info:
; codeLenInByte = 12028
; NumSgprs: 32
; NumVgprs: 64
; ScratchSize: 0
; MemoryBound: 0
; FloatMode: 240
; IeeeMode: 1
; LDSByteSize: 0 bytes/workgroup (compile time only)
; SGPRBlocks: 3
; VGPRBlocks: 15
; NumSGPRsForWavesPerEU: 32
; NumVGPRsForWavesPerEU: 64
; Occupancy: 4
; WaveLimiterHint : 1
; COMPUTE_PGM_RSRC2:SCRATCH_EN: 0
; COMPUTE_PGM_RSRC2:USER_SGPR: 6
; COMPUTE_PGM_RSRC2:TRAP_HANDLER: 0
; COMPUTE_PGM_RSRC2:TGID_X_EN: 1
; COMPUTE_PGM_RSRC2:TGID_Y_EN: 0
; COMPUTE_PGM_RSRC2:TGID_Z_EN: 0
; COMPUTE_PGM_RSRC2:TIDIG_COMP_CNT: 0
	.type	__hip_cuid_b8a04370f55cd35e,@object ; @__hip_cuid_b8a04370f55cd35e
	.section	.bss,"aw",@nobits
	.globl	__hip_cuid_b8a04370f55cd35e
__hip_cuid_b8a04370f55cd35e:
	.byte	0                               ; 0x0
	.size	__hip_cuid_b8a04370f55cd35e, 1

	.ident	"AMD clang version 19.0.0git (https://github.com/RadeonOpenCompute/llvm-project roc-6.4.0 25133 c7fe45cf4b819c5991fe208aaa96edf142730f1d)"
	.section	".note.GNU-stack","",@progbits
	.addrsig
	.addrsig_sym __hip_cuid_b8a04370f55cd35e
	.amdgpu_metadata
---
amdhsa.kernels:
  - .args:
      - .actual_access:  read_only
        .address_space:  global
        .offset:         0
        .size:           8
        .value_kind:     global_buffer
      - .offset:         8
        .size:           8
        .value_kind:     by_value
      - .actual_access:  read_only
        .address_space:  global
        .offset:         16
        .size:           8
        .value_kind:     global_buffer
      - .actual_access:  read_only
        .address_space:  global
        .offset:         24
        .size:           8
        .value_kind:     global_buffer
      - .actual_access:  read_only
        .address_space:  global
        .offset:         32
        .size:           8
        .value_kind:     global_buffer
      - .offset:         40
        .size:           8
        .value_kind:     by_value
      - .actual_access:  read_only
        .address_space:  global
        .offset:         48
        .size:           8
        .value_kind:     global_buffer
      - .actual_access:  read_only
        .address_space:  global
        .offset:         56
        .size:           8
        .value_kind:     global_buffer
      - .offset:         64
        .size:           4
        .value_kind:     by_value
      - .actual_access:  read_only
        .address_space:  global
        .offset:         72
        .size:           8
        .value_kind:     global_buffer
      - .actual_access:  read_only
        .address_space:  global
        .offset:         80
        .size:           8
        .value_kind:     global_buffer
      - .actual_access:  read_only
        .address_space:  global
        .offset:         88
        .size:           8
        .value_kind:     global_buffer
      - .actual_access:  write_only
        .address_space:  global
        .offset:         96
        .size:           8
        .value_kind:     global_buffer
    .group_segment_fixed_size: 0
    .kernarg_segment_align: 8
    .kernarg_segment_size: 104
    .language:       OpenCL C
    .language_version:
      - 2
      - 0
    .max_flat_workgroup_size: 90
    .name:           fft_rtc_fwd_len1440_factors_10_16_3_3_wgs_90_tpt_90_halfLds_half_op_CI_CI_unitstride_sbrr_R2C_dirReg
    .private_segment_fixed_size: 0
    .sgpr_count:     32
    .sgpr_spill_count: 0
    .symbol:         fft_rtc_fwd_len1440_factors_10_16_3_3_wgs_90_tpt_90_halfLds_half_op_CI_CI_unitstride_sbrr_R2C_dirReg.kd
    .uniform_work_group_size: 1
    .uses_dynamic_stack: false
    .vgpr_count:     64
    .vgpr_spill_count: 0
    .wavefront_size: 64
amdhsa.target:   amdgcn-amd-amdhsa--gfx906
amdhsa.version:
  - 1
  - 2
...

	.end_amdgpu_metadata
